;; amdgpu-corpus repo=zjin-lcf/HeCBench kind=compiled arch=gfx950 opt=O3
	.amdgcn_target "amdgcn-amd-amdhsa--gfx950"
	.amdhsa_code_object_version 6
	.text
	.protected	_Z20calculateForceKernelP6atom_tidPKdS2_idiid ; -- Begin function _Z20calculateForceKernelP6atom_tidPKdS2_idiid
	.globl	_Z20calculateForceKernelP6atom_tidPKdS2_idiid
	.p2align	8
	.type	_Z20calculateForceKernelP6atom_tidPKdS2_idiid,@function
_Z20calculateForceKernelP6atom_tidPKdS2_idiid: ; @_Z20calculateForceKernelP6atom_tidPKdS2_idiid
; %bb.0:
	s_load_dword s3, s[0:1], 0x54
	s_load_dword s33, s[0:1], 0x8
	s_waitcnt lgkmcnt(0)
	s_and_b32 s3, s3, 0xffff
	s_mul_i32 s2, s2, s3
	v_add_u32_e32 v21, s2, v0
	v_cmp_gt_i32_e32 vcc, s33, v21
	s_and_saveexec_b64 s[2:3], vcc
	s_cbranch_execz .LBB0_81
; %bb.1:
	s_load_dwordx2 s[52:53], s[0:1], 0x0
	s_load_dwordx4 s[24:27], s[0:1], 0x10
	s_movk_i32 s2, 0x70
	v_add_u32_e32 v20, 1, v21
	s_waitcnt lgkmcnt(0)
	v_mov_b64_e32 v[0:1], s[52:53]
	v_mad_i64_i32 v[28:29], s[2:3], v21, s2, v[0:1]
	global_load_dwordx4 v[8:11], v[28:29], off offset:16
	global_load_dwordx4 v[12:15], v[28:29], off
	global_load_dwordx4 v[16:19], v[28:29], off offset:32
	global_load_dwordx2 v[30:31], v[28:29], off offset:72
	global_load_dwordx4 v[0:3], v[28:29], off offset:96
	global_load_dwordx4 v[24:27], v[28:29], off offset:80
	s_waitcnt vmcnt(1)
	scratch_store_dwordx4 off, v[0:3], off  ; 16-byte Folded Spill
	s_load_dword s64, s[0:1], 0x28
	s_load_dwordx2 s[34:35], s[0:1], 0x20
	s_waitcnt lgkmcnt(0)
	s_cmp_gt_u32 s64, 2
	s_cbranch_scc0 .LBB0_4
; %bb.2:
	s_add_i32 s2, s64, -1
	s_cmp_gt_u32 s2, 1
	s_cbranch_scc0 .LBB0_21
.LBB0_3:
	s_cmp_lg_u32 s64, 2
	s_cbranch_scc0 .LBB0_63
	s_branch .LBB0_81
.LBB0_4:
	v_add_u32_e32 v22, 1, v21
	v_cmp_gt_i32_e32 vcc, s33, v22
	v_mov_b64_e32 v[2:3], 0
	v_mov_b64_e32 v[4:5], 0
	;; [unrolled: 1-line block ×3, first 2 shown]
	s_and_saveexec_b64 s[20:21], vcc
	s_cbranch_execz .LBB0_20
; %bb.5:
	s_movk_i32 s4, 0x70
	v_mov_b64_e32 v[0:1], s[52:53]
	v_mad_i64_i32 v[0:1], s[4:5], v21, s4, v[0:1]
	s_mov_b64 s[28:29], 0x70
	s_mov_b32 s54, 0
	s_mov_b32 s56, 0
	v_cmp_eq_u32_e64 s[22:23], 0, v31
	v_cmp_ne_u32_e64 s[2:3], 0, v31
	v_lshl_add_u64 v[6:7], v[0:1], 0, s[28:29]
	v_mov_b64_e32 v[0:1], 0
	s_mov_b64 s[30:31], 0
	s_brev_b32 s55, 8
	v_mov_b32_e32 v23, 0x260
	s_mov_b32 s57, 0x40380000
	v_mov_b32_e32 v50, 0x100
	v_mov_b32_e32 v51, 0xffffff80
	v_mov_b64_e32 v[4:5], 0
	v_mov_b64_e32 v[2:3], 0
	s_branch .LBB0_10
.LBB0_6:                                ;   in Loop: Header=BB0_10 Depth=1
	s_or_b64 exec, exec, s[4:5]
.LBB0_7:                                ;   in Loop: Header=BB0_10 Depth=1
	s_or_b64 exec, exec, s[62:63]
.LBB0_8:                                ;   in Loop: Header=BB0_10 Depth=1
	s_or_b64 exec, exec, s[60:61]
.LBB0_9:                                ;   in Loop: Header=BB0_10 Depth=1
	s_or_b64 exec, exec, s[58:59]
	v_add_u32_e32 v22, 1, v22
	v_cmp_le_i32_e32 vcc, s33, v22
	s_or_b64 s[30:31], vcc, s[30:31]
	v_lshl_add_u64 v[6:7], v[6:7], 0, s[28:29]
	s_andn2_b64 exec, exec, s[30:31]
	s_cbranch_execz .LBB0_19
.LBB0_10:                               ; =>This Inner Loop Header: Depth=1
	global_load_dword v32, v[6:7], off offset:72
	s_waitcnt vmcnt(0)
	v_cmp_ne_u32_e32 vcc, v30, v32
	s_and_saveexec_b64 s[58:59], vcc
	s_cbranch_execz .LBB0_9
; %bb.11:                               ;   in Loop: Header=BB0_10 Depth=1
	s_mov_b64 s[4:5], s[22:23]
	s_and_saveexec_b64 s[6:7], s[2:3]
	s_cbranch_execz .LBB0_13
; %bb.12:                               ;   in Loop: Header=BB0_10 Depth=1
	global_load_dword v32, v[6:7], off offset:76
	s_andn2_b64 s[4:5], s[22:23], exec
	s_waitcnt vmcnt(0)
	v_cmp_eq_u32_e32 vcc, 0, v32
	s_and_b64 s[8:9], vcc, exec
	s_or_b64 s[4:5], s[4:5], s[8:9]
.LBB0_13:                               ;   in Loop: Header=BB0_10 Depth=1
	s_or_b64 exec, exec, s[6:7]
	s_and_saveexec_b64 s[60:61], s[4:5]
	s_cbranch_execz .LBB0_8
; %bb.14:                               ;   in Loop: Header=BB0_10 Depth=1
	global_load_dwordx4 v[32:35], v[6:7], off offset:24
	s_waitcnt vmcnt(0)
	v_mul_f64 v[38:39], v[10:11], v[32:33]
	v_cmp_gt_f64_e32 vcc, s[54:55], v[38:39]
	v_add_f64 v[36:37], v[16:17], v[34:35]
	v_mul_f64 v[36:37], v[36:37], 0.5
	v_cndmask_b32_e32 v40, 0, v50, vcc
	v_ldexp_f64 v[38:39], v[38:39], v40
	v_rsq_f64_e32 v[40:41], v[38:39]
	v_cmp_neq_f64_e64 s[4:5], v[16:17], v[34:35]
	v_cndmask_b32_e32 v44, 0, v51, vcc
	v_cmp_class_f64_e32 vcc, v[38:39], v23
	v_cndmask_b32_e64 v35, v17, v37, s[4:5]
	v_cndmask_b32_e64 v34, v16, v36, s[4:5]
	v_mul_f64 v[36:37], v[38:39], v[40:41]
	v_mul_f64 v[40:41], v[40:41], 0.5
	v_fma_f64 v[42:43], -v[40:41], v[36:37], 0.5
	v_fmac_f64_e32 v[36:37], v[36:37], v[42:43]
	v_fmac_f64_e32 v[40:41], v[40:41], v[42:43]
	v_fma_f64 v[42:43], -v[36:37], v[36:37], v[38:39]
	v_fmac_f64_e32 v[36:37], v[42:43], v[40:41]
	v_fma_f64 v[42:43], -v[36:37], v[36:37], v[38:39]
	v_fmac_f64_e32 v[36:37], v[42:43], v[40:41]
	v_ldexp_f64 v[36:37], v[36:37], v44
	v_cndmask_b32_e32 v36, v36, v38, vcc
	v_cndmask_b32_e32 v37, v37, v39, vcc
	v_cmp_neq_f64_e32 vcc, v[10:11], v[32:33]
	s_nop 1
	v_cndmask_b32_e32 v33, v11, v37, vcc
	v_cndmask_b32_e32 v32, v10, v36, vcc
	v_cmp_neq_f64_e32 vcc, 0, v[34:35]
	v_cmp_neq_f64_e64 s[4:5], 0, v[32:33]
	s_and_b64 s[4:5], vcc, s[4:5]
	s_and_saveexec_b64 s[62:63], s[4:5]
	s_cbranch_execz .LBB0_7
; %bb.15:                               ;   in Loop: Header=BB0_10 Depth=1
	global_load_dwordx4 v[36:39], v[6:7], off
	global_load_dwordx2 v[40:41], v[6:7], off offset:16
	s_load_dwordx16 s[4:19], s[34:35], 0x0
	s_load_dwordx2 s[66:67], s[34:35], 0x40
	s_load_dwordx16 s[36:51], s[26:27], 0x0
	s_load_dwordx2 s[68:69], s[26:27], 0x40
	s_waitcnt vmcnt(1)
	v_add_f64 v[44:45], v[12:13], -v[36:37]
	v_add_f64 v[46:47], v[14:15], -v[38:39]
	s_waitcnt lgkmcnt(0)
	v_fma_f64 v[36:37], s[4:5], v[44:45], 0
	s_waitcnt vmcnt(0)
	v_add_f64 v[48:49], v[8:9], -v[40:41]
	v_fma_f64 v[38:39], s[10:11], v[44:45], 0
	v_fmac_f64_e32 v[36:37], s[6:7], v[46:47]
	v_fma_f64 v[40:41], s[16:17], v[44:45], 0
	v_fmac_f64_e32 v[38:39], s[12:13], v[46:47]
	v_fmac_f64_e32 v[36:37], s[8:9], v[48:49]
	v_fmac_f64_e32 v[40:41], s[18:19], v[46:47]
	v_fmac_f64_e32 v[38:39], s[14:15], v[48:49]
	v_rndne_f64_e32 v[36:37], v[36:37]
	v_fmac_f64_e32 v[40:41], s[66:67], v[48:49]
	v_rndne_f64_e32 v[38:39], v[38:39]
	v_fma_f64 v[52:53], v[36:37], s[42:43], 0
	v_rndne_f64_e32 v[40:41], v[40:41]
	v_fma_f64 v[42:43], v[36:37], s[36:37], 0
	v_fmac_f64_e32 v[52:53], s[44:45], v[38:39]
	v_fma_f64 v[36:37], v[36:37], s[48:49], 0
	v_fmac_f64_e32 v[42:43], s[38:39], v[38:39]
	v_fmac_f64_e32 v[52:53], s[46:47], v[40:41]
	;; [unrolled: 1-line block ×4, first 2 shown]
	v_add_f64 v[38:39], v[46:47], -v[52:53]
	v_fmac_f64_e32 v[36:37], s[68:69], v[40:41]
	v_add_f64 v[40:41], v[44:45], -v[42:43]
	v_mul_f64 v[42:43], v[38:39], v[38:39]
	v_add_f64 v[36:37], v[48:49], -v[36:37]
	v_fmac_f64_e32 v[42:43], v[40:41], v[40:41]
	v_fmac_f64_e32 v[42:43], v[36:37], v[36:37]
	v_cmp_nle_f64_e32 vcc, 0, v[42:43]
	s_and_saveexec_b64 s[4:5], vcc
; %bb.16:                               ;   in Loop: Header=BB0_10 Depth=1
	v_mul_f64 v[42:43], v[46:47], v[46:47]
	v_fmac_f64_e32 v[42:43], v[44:45], v[44:45]
	v_fmac_f64_e32 v[42:43], v[48:49], v[48:49]
	v_mov_b64_e32 v[40:41], v[44:45]
	v_mov_b64_e32 v[38:39], v[46:47]
	v_mov_b64_e32 v[36:37], v[48:49]
; %bb.17:                               ;   in Loop: Header=BB0_10 Depth=1
	s_or_b64 exec, exec, s[4:5]
	v_cmp_gt_f64_e32 vcc, s[54:55], v[42:43]
	s_nop 1
	v_cndmask_b32_e32 v44, 0, v50, vcc
	v_ldexp_f64 v[44:45], v[42:43], v44
	v_rsq_f64_e32 v[46:47], v[44:45]
	s_nop 0
	v_mul_f64 v[48:49], v[44:45], v[46:47]
	v_mul_f64 v[46:47], v[46:47], 0.5
	v_fma_f64 v[52:53], -v[46:47], v[48:49], 0.5
	v_fmac_f64_e32 v[48:49], v[48:49], v[52:53]
	v_fmac_f64_e32 v[46:47], v[46:47], v[52:53]
	v_fma_f64 v[52:53], -v[48:49], v[48:49], v[44:45]
	v_fmac_f64_e32 v[48:49], v[52:53], v[46:47]
	v_fma_f64 v[52:53], -v[48:49], v[48:49], v[44:45]
	v_fmac_f64_e32 v[48:49], v[52:53], v[46:47]
	v_cndmask_b32_e32 v46, 0, v51, vcc
	v_ldexp_f64 v[46:47], v[48:49], v46
	v_cmp_class_f64_e32 vcc, v[44:45], v23
	s_nop 1
	v_cndmask_b32_e32 v45, v47, v45, vcc
	v_cndmask_b32_e32 v44, v46, v44, vcc
	v_cmp_ge_f64_e32 vcc, s[24:25], v[44:45]
	s_and_saveexec_b64 s[4:5], vcc
	s_cbranch_execz .LBB0_6
; %bb.18:                               ;   in Loop: Header=BB0_10 Depth=1
	v_mul_f64 v[34:35], v[34:35], v[34:35]
	v_mul_f64 v[44:45], v[42:43], v[42:43]
	;; [unrolled: 1-line block ×7, first 2 shown]
	v_add_f64 v[46:47], v[46:47], v[46:47]
	v_mul_f64 v[48:49], v[42:43], v[48:49]
	v_div_scale_f64 v[52:53], s[6:7], v[48:49], v[48:49], v[46:47]
	v_rcp_f64_e32 v[54:55], v[52:53]
	v_mul_f64 v[42:43], v[42:43], v[44:45]
	v_div_scale_f64 v[44:45], s[6:7], v[42:43], v[42:43], v[34:35]
	v_fma_f64 v[56:57], -v[52:53], v[54:55], 1.0
	v_fmac_f64_e32 v[54:55], v[54:55], v[56:57]
	v_fma_f64 v[56:57], -v[52:53], v[54:55], 1.0
	v_fmac_f64_e32 v[54:55], v[54:55], v[56:57]
	v_div_scale_f64 v[56:57], vcc, v[46:47], v[48:49], v[46:47]
	v_mul_f64 v[58:59], v[56:57], v[54:55]
	v_fma_f64 v[52:53], -v[52:53], v[58:59], v[56:57]
	v_rcp_f64_e32 v[56:57], v[44:45]
	s_nop 0
	v_div_fmas_f64 v[52:53], v[52:53], v[54:55], v[58:59]
	v_div_fixup_f64 v[46:47], v[52:53], v[48:49], v[46:47]
	v_mul_f64 v[40:41], v[40:41], s[56:57]
	v_fma_f64 v[48:49], -v[44:45], v[56:57], 1.0
	v_fmac_f64_e32 v[56:57], v[56:57], v[48:49]
	v_fma_f64 v[48:49], -v[44:45], v[56:57], 1.0
	v_fmac_f64_e32 v[56:57], v[56:57], v[48:49]
	v_div_scale_f64 v[48:49], vcc, v[34:35], v[42:43], v[34:35]
	v_mul_f64 v[52:53], v[48:49], v[56:57]
	v_fma_f64 v[44:45], -v[44:45], v[52:53], v[48:49]
	v_mul_f64 v[40:41], v[32:33], v[40:41]
	s_nop 0
	v_div_fmas_f64 v[44:45], v[44:45], v[56:57], v[52:53]
	v_div_fixup_f64 v[34:35], v[44:45], v[42:43], v[34:35]
	v_add_f64 v[34:35], v[46:47], -v[34:35]
	v_mul_f64 v[38:39], v[38:39], s[56:57]
	v_mul_f64 v[42:43], v[34:35], -v[40:41]
	v_mul_f64 v[38:39], v[32:33], v[38:39]
	v_mul_f64 v[36:37], v[36:37], s[56:57]
	global_atomic_add_f64 v[6:7], v[42:43], off offset:48
	v_mul_f64 v[42:43], v[34:35], -v[38:39]
	v_mul_f64 v[32:33], v[32:33], v[36:37]
	global_atomic_add_f64 v[6:7], v[42:43], off offset:56
	v_mul_f64 v[36:37], v[34:35], -v[32:33]
	global_atomic_add_f64 v[6:7], v[36:37], off offset:64
	v_fmac_f64_e32 v[0:1], v[34:35], v[40:41]
	v_fmac_f64_e32 v[4:5], v[34:35], v[38:39]
	;; [unrolled: 1-line block ×3, first 2 shown]
	s_branch .LBB0_6
.LBB0_19:
	s_or_b64 exec, exec, s[30:31]
.LBB0_20:
	s_or_b64 exec, exec, s[20:21]
	global_atomic_add_f64 v[28:29], v[0:1], off offset:48
	global_atomic_add_f64 v[28:29], v[4:5], off offset:56
	;; [unrolled: 1-line block ×3, first 2 shown]
	s_add_i32 s2, s64, -1
	s_cmp_gt_u32 s2, 1
	s_cbranch_scc1 .LBB0_3
.LBB0_21:
	s_cmp_lt_i32 s33, 1
	s_mov_b32 s37, 0
	s_cbranch_scc1 .LBB0_61
; %bb.22:
	s_load_dwordx16 s[4:19], s[26:27], 0x0
	s_load_dwordx2 s[2:3], s[26:27], 0x40
	s_load_dwordx4 s[28:31], s[0:1], 0x30
	s_mov_b32 s44, 0x652b82fe
	s_mov_b32 s46, 0xfefa39ef
	s_waitcnt lgkmcnt(0)
	v_mov_b64_e32 v[0:1], s[14:15]
	v_mov_b64_e32 v[2:3], s[2:3]
	;; [unrolled: 1-line block ×3, first 2 shown]
	v_mul_f64 v[0:1], s[18:19], v[0:1]
	v_mul_f64 v[6:7], s[2:3], v[4:5]
	v_fma_f64 v[0:1], s[12:13], v[2:3], -v[0:1]
	v_mov_b64_e32 v[2:3], s[8:9]
	v_fma_f64 v[6:7], s[18:19], v[2:3], -v[6:7]
	v_mul_f64 v[6:7], s[10:11], v[6:7]
	v_fmac_f64_e32 v[6:7], s[4:5], v[0:1]
	v_mul_f64 v[0:1], s[14:15], v[2:3]
	v_fma_f64 v[0:1], s[14:15], v[4:5], -v[0:1]
	v_fmac_f64_e32 v[6:7], s[16:17], v[0:1]
	v_div_scale_f64 v[0:1], s[2:3], v[6:7], v[6:7], 1.0
	v_rcp_f64_e32 v[2:3], v[0:1]
	s_cmp_lg_u32 s31, 0
	s_cselect_b64 s[38:39], -1, 0
	s_cmp_gt_i32 s30, -1
	v_fma_f64 v[4:5], -v[0:1], v[2:3], 1.0
	v_fmac_f64_e32 v[2:3], v[2:3], v[4:5]
	v_fma_f64 v[4:5], -v[0:1], v[2:3], 1.0
	v_fmac_f64_e32 v[2:3], v[2:3], v[4:5]
	v_div_scale_f64 v[4:5], vcc, 1.0, v[6:7], 1.0
	v_mul_f64 v[10:11], v[4:5], v[2:3]
	v_fma_f64 v[0:1], -v[0:1], v[10:11], v[4:5]
	s_mov_b32 s48, 0x3b39803f
	s_nop 0
	v_div_fmas_f64 v[0:1], v[0:1], v[2:3], v[10:11]
	v_div_fixup_f64 v[0:1], v[0:1], v[6:7], 1.0
	scratch_store_dwordx2 off, v[0:1], off offset:16 ; 8-byte Folded Spill
	v_mul_f64 v[0:1], s[28:29], 4.0
	v_mul_f64 v[16:17], s[28:29], v[0:1]
	v_mov_b32_e32 v0, 0
	v_mov_b32_e32 v2, v0
	;; [unrolled: 1-line block ×7, first 2 shown]
	v_cmp_eq_f64_e32 vcc, 0, v[18:19]
	v_mov_b32_e32 v1, v0
	s_mov_b32 s54, 0x6a5dcb37
	s_mov_b32 s66, 0x555502a1
	;; [unrolled: 1-line block ×12, first 2 shown]
	v_mov_b32_e32 v22, 0x8a03dcdb
	s_mov_b32 s78, 0xf9a43bb8
	scratch_store_dwordx2 off, v[6:7], off offset:24 ; 8-byte Folded Spill
	v_mov_b32_e32 v23, 0x3e6d9048
	v_mov_b64_e32 v[6:7], v[4:5]
	v_cmp_ne_u32_e64 s[2:3], 0, v31
	v_cmp_neq_f64_e64 s[4:5], 0, v[18:19]
	s_cselect_b64 s[40:41], -1, 0
	s_sub_i32 s31, 0, s30
	s_movk_i32 s65, 0x70
	s_xor_b64 s[42:43], vcc, -1
	s_mov_b32 s45, 0x3ff71547
	s_mov_b32 s47, 0xbfe62e42
	;; [unrolled: 1-line block ×20, first 2 shown]
	v_mov_b32_e32 v10, 0xd9802b82
	v_mov_b32_e32 v32, 0x2eba62d8
	;; [unrolled: 1-line block ×25, first 2 shown]
	s_mov_b32 s79, 0x3de5e0b2
	v_mov_b32_e32 v86, 0x555502a1
	v_mov_b32_e32 v11, 0x3e7b45f1
	scratch_store_dwordx2 off, v[22:23], off offset:40 ; 8-byte Folded Spill
	v_mov_b32_e32 v33, 0xbeab87b0
	v_mov_b32_e32 v35, 0x3e95104b
	;; [unrolled: 1-line block ×46, first 2 shown]
	v_mov_b64_e32 v[4:5], v[2:3]
	v_mov_b64_e32 v[2:3], v[0:1]
	s_mov_b32 s80, s37
	scratch_store_dwordx2 off, v[10:11], off offset:32 ; 8-byte Folded Spill
	scratch_store_dwordx2 off, v[32:33], off offset:48 ; 8-byte Folded Spill
	;; [unrolled: 1-line block ×12, first 2 shown]
	s_branch .LBB0_26
.LBB0_23:                               ;   in Loop: Header=BB0_26 Depth=1
	s_or_b64 exec, exec, s[60:61]
.LBB0_24:                               ;   in Loop: Header=BB0_26 Depth=1
	s_or_b64 exec, exec, s[58:59]
.LBB0_25:                               ;   in Loop: Header=BB0_26 Depth=1
	s_or_b64 exec, exec, s[56:57]
	s_add_i32 s80, s80, 1
	s_cmp_eq_u32 s80, s33
	s_cbranch_scc1 .LBB0_62
.LBB0_26:                               ; =>This Loop Header: Depth=1
                                        ;     Child Loop BB0_44 Depth 2
                                        ;       Child Loop BB0_47 Depth 3
                                        ;         Child Loop BB0_49 Depth 4
                                        ;       Child Loop BB0_59 Depth 3
	s_mov_b64 s[6:7], 0
	s_and_saveexec_b64 s[8:9], s[2:3]
	s_xor_b64 s[8:9], exec, s[8:9]
	s_cbranch_execnz .LBB0_29
; %bb.27:                               ;   in Loop: Header=BB0_26 Depth=1
	s_or_saveexec_b64 s[8:9], s[8:9]
	v_mov_b64_e32 v[10:11], s[80:81]
	s_xor_b64 exec, exec, s[8:9]
	s_cbranch_execnz .LBB0_30
.LBB0_28:                               ;   in Loop: Header=BB0_26 Depth=1
	s_or_b64 exec, exec, s[8:9]
	s_and_saveexec_b64 s[56:57], s[6:7]
	s_cbranch_execz .LBB0_25
	s_branch .LBB0_33
.LBB0_29:                               ;   in Loop: Header=BB0_26 Depth=1
	s_mul_i32 s6, s80, 0x70
	s_mul_hi_u32 s7, s80, 0x70
	s_add_u32 s6, s52, s6
	s_addc_u32 s7, s53, s7
	global_load_dword v1, v0, s[6:7] offset:76
	s_mov_b32 s81, s37
	s_waitcnt vmcnt(0)
	v_cmp_eq_u32_e32 vcc, 0, v1
	s_and_b64 s[6:7], vcc, s[42:43]
	s_and_b64 s[6:7], s[6:7], exec
	s_or_saveexec_b64 s[8:9], s[8:9]
	v_mov_b64_e32 v[10:11], s[80:81]
	s_xor_b64 exec, exec, s[8:9]
	s_cbranch_execz .LBB0_28
.LBB0_30:                               ;   in Loop: Header=BB0_26 Depth=1
	s_mov_b64 s[10:11], s[6:7]
	s_and_saveexec_b64 s[12:13], s[4:5]
; %bb.31:                               ;   in Loop: Header=BB0_26 Depth=1
	s_mov_b32 s81, s37
	s_or_b64 s[10:11], s[6:7], exec
; %bb.32:                               ;   in Loop: Header=BB0_26 Depth=1
	s_or_b64 exec, exec, s[12:13]
	s_andn2_b64 s[6:7], s[6:7], exec
	s_and_b64 s[10:11], s[10:11], exec
	v_mov_b64_e32 v[10:11], s[80:81]
	s_or_b64 s[6:7], s[6:7], s[10:11]
	s_or_b64 exec, exec, s[8:9]
	s_and_saveexec_b64 s[56:57], s[6:7]
	s_cbranch_execz .LBB0_25
.LBB0_33:                               ;   in Loop: Header=BB0_26 Depth=1
	v_mov_b64_e32 v[32:33], s[52:53]
	v_mad_u64_u32 v[110:111], s[6:7], v10, s65, v[32:33]
	v_mov_b32_e32 v10, v111
	v_mad_u64_u32 v[10:11], s[6:7], v11, s65, v[10:11]
	v_mov_b32_e32 v111, v10
	global_load_dwordx2 v[120:121], v[110:111], off offset:40
	v_cmp_ne_u32_e64 s[6:7], s80, v21
	s_waitcnt vmcnt(0)
	v_cmp_neq_f64_e32 vcc, 0, v[120:121]
	s_and_b64 s[6:7], s[6:7], vcc
	s_and_saveexec_b64 s[58:59], s[6:7]
	s_cbranch_execz .LBB0_24
; %bb.34:                               ;   in Loop: Header=BB0_26 Depth=1
	global_load_dwordx2 v[10:11], v[110:111], off offset:16
	global_load_dwordx4 v[32:35], v[110:111], off
	s_load_dwordx16 s[8:23], s[34:35], 0x0
	s_load_dwordx2 s[6:7], s[34:35], 0x40
	s_waitcnt vmcnt(1)
	v_add_f64 v[126:127], v[8:9], -v[10:11]
	s_waitcnt vmcnt(0)
	v_add_f64 v[122:123], v[12:13], -v[32:33]
	v_add_f64 v[124:125], v[14:15], -v[34:35]
	s_waitcnt lgkmcnt(0)
	v_fma_f64 v[10:11], s[8:9], v[122:123], 0
	v_fmac_f64_e32 v[10:11], s[10:11], v[124:125]
	v_fmac_f64_e32 v[10:11], s[12:13], v[126:127]
	v_rndne_f64_e32 v[36:37], v[10:11]
	v_fma_f64 v[10:11], s[14:15], v[122:123], 0
	v_fmac_f64_e32 v[10:11], s[16:17], v[124:125]
	v_fmac_f64_e32 v[10:11], s[18:19], v[126:127]
	v_rndne_f64_e32 v[38:39], v[10:11]
	v_fma_f64 v[10:11], s[20:21], v[122:123], 0
	v_fmac_f64_e32 v[10:11], s[22:23], v[124:125]
	s_load_dwordx16 s[8:23], s[26:27], 0x0
	v_fmac_f64_e32 v[10:11], s[6:7], v[126:127]
	s_load_dwordx2 s[6:7], s[26:27], 0x40
	v_rndne_f64_e32 v[10:11], v[10:11]
	s_waitcnt lgkmcnt(0)
	v_fma_f64 v[34:35], v[36:37], s[14:15], 0
	v_fma_f64 v[32:33], v[36:37], s[8:9], 0
	v_fmac_f64_e32 v[34:35], s[16:17], v[38:39]
	v_fmac_f64_e32 v[32:33], s[10:11], v[38:39]
	;; [unrolled: 1-line block ×3, first 2 shown]
	v_fma_f64 v[36:37], v[36:37], s[20:21], 0
	v_fmac_f64_e32 v[32:33], s[12:13], v[10:11]
	v_fmac_f64_e32 v[36:37], s[22:23], v[38:39]
	v_add_f64 v[114:115], v[124:125], -v[34:35]
	v_fmac_f64_e32 v[36:37], s[6:7], v[10:11]
	v_add_f64 v[112:113], v[122:123], -v[32:33]
	v_mul_f64 v[118:119], v[114:115], v[114:115]
	v_add_f64 v[116:117], v[126:127], -v[36:37]
	v_fmac_f64_e32 v[118:119], v[112:113], v[112:113]
	v_fmac_f64_e32 v[118:119], v[116:117], v[116:117]
	v_cmp_nle_f64_e32 vcc, 0, v[118:119]
	s_and_saveexec_b64 s[6:7], vcc
; %bb.35:                               ;   in Loop: Header=BB0_26 Depth=1
	v_mul_f64 v[118:119], v[124:125], v[124:125]
	v_fmac_f64_e32 v[118:119], v[122:123], v[122:123]
	v_fmac_f64_e32 v[118:119], v[126:127], v[126:127]
	v_mov_b64_e32 v[112:113], v[122:123]
	v_mov_b64_e32 v[114:115], v[124:125]
	;; [unrolled: 1-line block ×3, first 2 shown]
; %bb.36:                               ;   in Loop: Header=BB0_26 Depth=1
	s_or_b64 exec, exec, s[6:7]
	s_mov_b32 s6, 0
	s_brev_b32 s7, 8
	v_cmp_gt_f64_e32 vcc, s[6:7], v[118:119]
	v_mov_b32_e32 v1, 0x100
	s_nop 0
	v_cndmask_b32_e32 v1, 0, v1, vcc
	v_ldexp_f64 v[10:11], v[118:119], v1
	v_rsq_f64_e32 v[32:33], v[10:11]
	v_mov_b32_e32 v1, 0xffffff80
	v_cndmask_b32_e32 v1, 0, v1, vcc
	v_mul_f64 v[34:35], v[10:11], v[32:33]
	v_mul_f64 v[32:33], v[32:33], 0.5
	v_fma_f64 v[36:37], -v[32:33], v[34:35], 0.5
	v_fmac_f64_e32 v[34:35], v[34:35], v[36:37]
	v_fmac_f64_e32 v[32:33], v[32:33], v[36:37]
	v_fma_f64 v[36:37], -v[34:35], v[34:35], v[10:11]
	v_fmac_f64_e32 v[34:35], v[36:37], v[32:33]
	v_fma_f64 v[36:37], -v[34:35], v[34:35], v[10:11]
	v_fmac_f64_e32 v[34:35], v[36:37], v[32:33]
	v_ldexp_f64 v[32:33], v[34:35], v1
	v_mov_b32_e32 v1, 0x260
	v_cmp_class_f64_e32 vcc, v[10:11], v1
	s_nop 1
	v_cndmask_b32_e32 v11, v33, v11, vcc
	v_cndmask_b32_e32 v10, v32, v10, vcc
	v_cmp_ge_f64_e32 vcc, s[24:25], v[10:11]
	s_and_saveexec_b64 s[8:9], vcc
	s_cbranch_execz .LBB0_40
; %bb.37:                               ;   in Loop: Header=BB0_26 Depth=1
	global_load_dword v1, v[110:111], off offset:72
	s_waitcnt vmcnt(0)
	v_cmp_lt_i32_e32 vcc, v30, v1
	s_and_saveexec_b64 s[10:11], vcc
	s_cbranch_execz .LBB0_39
; %bb.38:                               ;   in Loop: Header=BB0_26 Depth=1
	v_div_scale_f64 v[32:33], s[6:7], v[10:11], v[10:11], v[112:113]
	v_rcp_f64_e32 v[34:35], v[32:33]
	s_mov_b32 s12, 0x623fde64
	s_mov_b32 s13, 0x3ec71dee
	;; [unrolled: 1-line block ×3, first 2 shown]
	v_fma_f64 v[36:37], -v[32:33], v[34:35], 1.0
	v_fmac_f64_e32 v[34:35], v[34:35], v[36:37]
	v_fma_f64 v[36:37], -v[32:33], v[34:35], 1.0
	v_fmac_f64_e32 v[34:35], v[34:35], v[36:37]
	v_div_scale_f64 v[36:37], vcc, v[112:113], v[10:11], v[112:113]
	v_mul_f64 v[38:39], v[36:37], v[34:35]
	v_fma_f64 v[32:33], -v[32:33], v[38:39], v[36:37]
	s_mov_b32 s15, 0x3efa0199
	s_nop 0
	v_div_fmas_f64 v[32:33], v[32:33], v[34:35], v[38:39]
	v_div_fixup_f64 v[122:123], v[32:33], v[10:11], v[112:113]
	v_div_scale_f64 v[32:33], s[6:7], v[10:11], v[10:11], v[114:115]
	v_rcp_f64_e32 v[34:35], v[32:33]
	s_mov_b32 s16, 0x14761f6e
	s_mov_b32 s17, 0x3f2a01a0
	;; [unrolled: 1-line block ×3, first 2 shown]
	v_fma_f64 v[36:37], -v[32:33], v[34:35], 1.0
	v_fmac_f64_e32 v[34:35], v[34:35], v[36:37]
	v_fma_f64 v[36:37], -v[32:33], v[34:35], 1.0
	v_fmac_f64_e32 v[34:35], v[34:35], v[36:37]
	v_div_scale_f64 v[36:37], vcc, v[114:115], v[10:11], v[114:115]
	v_mul_f64 v[38:39], v[36:37], v[34:35]
	v_fma_f64 v[32:33], -v[32:33], v[38:39], v[36:37]
	s_mov_b32 s19, 0x3f56c16c
	s_nop 0
	v_div_fmas_f64 v[32:33], v[32:33], v[34:35], v[38:39]
	v_div_fixup_f64 v[124:125], v[32:33], v[10:11], v[114:115]
	v_div_scale_f64 v[32:33], s[6:7], v[10:11], v[10:11], v[116:117]
	v_rcp_f64_e32 v[34:35], v[32:33]
	s_mov_b32 s6, 0xfca7ab0c
	s_mov_b32 s7, 0x3e928af3
	v_mov_b64_e32 v[40:41], s[6:7]
	v_fma_f64 v[36:37], -v[32:33], v[34:35], 1.0
	v_fmac_f64_e32 v[34:35], v[34:35], v[36:37]
	v_fma_f64 v[36:37], -v[32:33], v[34:35], 1.0
	v_fmac_f64_e32 v[34:35], v[34:35], v[36:37]
	v_div_scale_f64 v[36:37], vcc, v[116:117], v[10:11], v[116:117]
	v_mul_f64 v[38:39], v[36:37], v[34:35]
	v_fma_f64 v[32:33], -v[32:33], v[38:39], v[36:37]
	s_mov_b32 s20, 0x11122322
	s_nop 0
	v_div_fmas_f64 v[32:33], v[32:33], v[34:35], v[38:39]
	v_mul_f64 v[34:35], s[28:29], -s[28:29]
	v_mul_f64 v[34:35], v[34:35], v[118:119]
	v_mul_f64 v[36:37], v[34:35], s[44:45]
	v_rndne_f64_e32 v[36:37], v[36:37]
	v_fma_f64 v[38:39], s[46:47], v[36:37], v[34:35]
	v_fmac_f64_e32 v[38:39], s[48:49], v[36:37]
	v_fma_f64 v[42:43], s[54:55], v[38:39], v[40:41]
	v_fma_f64 v[42:43], v[38:39], v[42:43], s[12:13]
	;; [unrolled: 1-line block ×5, first 2 shown]
	s_mov_b32 s21, 0x3f811111
	v_fma_f64 v[42:43], v[38:39], v[42:43], s[20:21]
	v_fma_f64 v[42:43], v[38:39], v[42:43], s[66:67]
	;; [unrolled: 1-line block ×4, first 2 shown]
	v_fma_f64 v[42:43], v[38:39], v[42:43], 1.0
	v_fma_f64 v[38:39], v[38:39], v[42:43], 1.0
	v_cvt_i32_f64_e32 v1, v[36:37]
	v_ldexp_f64 v[36:37], v[38:39], v1
	v_cmp_nlt_f64_e32 vcc, s[72:73], v[34:35]
	v_mul_f64 v[120:121], v[120:121], v[18:19]
	v_cmp_ngt_f64_e64 s[6:7], s[74:75], v[34:35]
	v_cndmask_b32_e32 v1, v22, v37, vcc
	v_div_fixup_f64 v[126:127], v[32:33], v[10:11], v[116:117]
	v_mul_f64 v[32:33], v[120:121], -2.0
	s_and_b64 vcc, s[6:7], vcc
	v_cndmask_b32_e64 v35, 0, v1, s[6:7]
	s_mov_b32 s6, 0x91b4ef6a
	v_mul_f64 v[32:33], s[28:29], v[32:33]
	v_cndmask_b32_e32 v34, 0, v36, vcc
	s_mov_b32 s7, 0x3ffc5bf8
	v_mul_f64 v[32:33], v[34:35], v[32:33]
	v_mul_f64 v[34:35], v[10:11], s[6:7]
	v_div_scale_f64 v[36:37], s[6:7], v[34:35], v[34:35], v[32:33]
	v_rcp_f64_e32 v[38:39], v[36:37]
	v_mul_f64 v[10:11], s[28:29], v[10:11]
	v_fma_f64 v[42:43], -v[36:37], v[38:39], 1.0
	v_fmac_f64_e32 v[38:39], v[38:39], v[42:43]
	v_fma_f64 v[42:43], -v[36:37], v[38:39], 1.0
	v_fmac_f64_e32 v[38:39], v[38:39], v[42:43]
	v_div_scale_f64 v[42:43], vcc, v[32:33], v[34:35], v[32:33]
	v_mul_f64 v[44:45], v[42:43], v[38:39]
	v_fma_f64 v[36:37], -v[36:37], v[44:45], v[42:43]
	s_nop 1
	v_div_fmas_f64 v[36:37], v[36:37], v[38:39], v[44:45]
	v_div_fixup_f64 v[32:33], v[36:37], v[34:35], v[32:33]
	v_mul_f64 v[34:35], v[10:11], -v[10:11]
	v_mul_f64 v[38:39], v[34:35], s[44:45]
	v_rndne_f64_e32 v[38:39], v[38:39]
	v_fma_f64 v[42:43], s[46:47], v[38:39], v[34:35]
	v_fmac_f64_e32 v[42:43], s[48:49], v[38:39]
	v_fmac_f64_e32 v[40:41], s[54:55], v[42:43]
	v_fma_f64 v[40:41], v[42:43], v[40:41], s[12:13]
	v_fma_f64 v[40:41], v[42:43], v[40:41], s[14:15]
	;; [unrolled: 1-line block ×8, first 2 shown]
	v_fma_f64 v[40:41], v[42:43], v[40:41], 1.0
	v_fma_f64 v[40:41], v[42:43], v[40:41], 1.0
	v_cvt_i32_f64_e32 v1, v[38:39]
	v_ldexp_f64 v[38:39], v[40:41], v1
	v_cmp_nlt_f64_e32 vcc, s[72:73], v[34:35]
	v_cmp_ngt_f64_e64 s[6:7], s[74:75], v[34:35]
	v_fma_f64 v[36:37], -v[10:11], v[10:11], -v[34:35]
	v_cndmask_b32_e32 v1, v22, v39, vcc
	s_and_b64 vcc, s[6:7], vcc
	v_cndmask_b32_e32 v34, 0, v38, vcc
	v_add_f64 v[38:39], |v[10:11]|, 4.0
	v_rcp_f64_e32 v[40:41], v[38:39]
	v_cndmask_b32_e64 v35, 0, v1, s[6:7]
	v_fmac_f64_e32 v[34:35], v[34:35], v[36:37]
	v_add_f64 v[36:37], |v[10:11]|, -4.0
	v_fma_f64 v[42:43], -v[38:39], v[40:41], 1.0
	v_fmac_f64_e32 v[40:41], v[42:43], v[40:41]
	v_fma_f64 v[38:39], -v[38:39], v[40:41], 1.0
	v_fmac_f64_e32 v[40:41], v[38:39], v[40:41]
	v_mul_f64 v[36:37], v[36:37], v[40:41]
	v_add_f64 v[38:39], v[36:37], 1.0
	v_fma_f64 v[38:39], v[38:39], -4.0, |v[10:11]|
	v_fma_f64 v[38:39], -v[36:37], |v[10:11]|, v[38:39]
	v_fmac_f64_e32 v[36:37], v[40:41], v[38:39]
	scratch_load_dwordx2 v[38:39], off, off offset:24 ; 8-byte Folded Reload
	scratch_load_dwordx2 v[40:41], off, off offset:32 ; 8-byte Folded Reload
	s_mov_b32 s6, 0x54df3c0e
	s_mov_b32 s7, 0xbe41f39d
	s_waitcnt vmcnt(1)
	v_fmac_f64_e32 v[38:39], s[6:7], v[36:37]
	s_waitcnt vmcnt(0)
	v_fmac_f64_e32 v[40:41], v[36:37], v[38:39]
	scratch_load_dwordx2 v[38:39], off, off offset:40 ; 8-byte Folded Reload
	s_mov_b32 s6, 0x41e48bfc
	s_mov_b32 s7, 0x403b39dc
	v_cmp_ngt_f64_e64 vcc, |v[10:11]|, s[6:7]
	s_waitcnt vmcnt(0)
	v_fmac_f64_e32 v[38:39], v[36:37], v[40:41]
	scratch_load_dwordx2 v[40:41], off, off offset:48 ; 8-byte Folded Reload
	s_waitcnt vmcnt(0)
	v_fmac_f64_e32 v[40:41], v[36:37], v[38:39]
	scratch_load_dwordx2 v[38:39], off, off offset:56 ; 8-byte Folded Reload
	;; [unrolled: 3-line block ×11, first 2 shown]
	s_waitcnt vmcnt(0)
	v_fmac_f64_e32 v[40:41], v[36:37], v[38:39]
	v_mov_b64_e32 v[38:39], v[60:61]
	v_fmac_f64_e32 v[38:39], v[36:37], v[40:41]
	v_mov_b64_e32 v[40:41], v[62:63]
	;; [unrolled: 2-line block ×7, first 2 shown]
	v_fmac_f64_e32 v[38:39], v[36:37], v[40:41]
	v_add_f64 v[36:37], |v[10:11]|, |v[10:11]|
	v_add_f64 v[40:41], v[36:37], 1.0
	v_rcp_f64_e32 v[42:43], v[40:41]
	s_nop 0
	v_fma_f64 v[44:45], -v[40:41], v[42:43], 1.0
	v_fmac_f64_e32 v[42:43], v[44:45], v[42:43]
	v_fma_f64 v[40:41], -v[40:41], v[42:43], 1.0
	v_fmac_f64_e32 v[42:43], v[40:41], v[42:43]
	v_fma_f64 v[40:41], v[38:39], v[42:43], v[42:43]
	v_fma_f64 v[36:37], -v[40:41], v[36:37], 1.0
	v_add_f64 v[38:39], v[38:39], -v[40:41]
	v_add_f64 v[36:37], v[36:37], v[38:39]
	v_fmac_f64_e32 v[40:41], v[42:43], v[36:37]
	v_mul_f64 v[34:35], v[34:35], v[40:41]
	v_cndmask_b32_e32 v35, 0, v35, vcc
	v_cndmask_b32_e32 v34, 0, v34, vcc
	v_add_f64 v[36:37], -v[34:35], 2.0
	v_cmp_gt_f64_e32 vcc, 0, v[10:11]
	s_nop 1
	v_cndmask_b32_e32 v11, v35, v37, vcc
	v_cndmask_b32_e32 v10, v34, v36, vcc
	v_mul_f64 v[10:11], v[10:11], v[120:121]
	v_div_scale_f64 v[34:35], s[6:7], v[118:119], v[118:119], v[10:11]
	v_rcp_f64_e32 v[36:37], v[34:35]
	s_nop 0
	v_fma_f64 v[38:39], -v[34:35], v[36:37], 1.0
	v_fmac_f64_e32 v[36:37], v[36:37], v[38:39]
	v_fma_f64 v[38:39], -v[34:35], v[36:37], 1.0
	v_fmac_f64_e32 v[36:37], v[36:37], v[38:39]
	v_div_scale_f64 v[38:39], vcc, v[10:11], v[118:119], v[10:11]
	v_mul_f64 v[40:41], v[38:39], v[36:37]
	v_fma_f64 v[34:35], -v[34:35], v[40:41], v[38:39]
	s_nop 1
	v_div_fmas_f64 v[34:35], v[34:35], v[36:37], v[40:41]
	v_div_fixup_f64 v[10:11], v[34:35], v[118:119], v[10:11]
	v_add_f64 v[10:11], v[32:33], -v[10:11]
	v_mul_f64 v[32:33], v[122:123], v[10:11]
	global_atomic_add_f64 v[110:111], v[32:33], off offset:48
	v_mul_f64 v[32:33], v[124:125], v[10:11]
	v_fma_f64 v[2:3], -v[122:123], v[10:11], v[2:3]
	v_fma_f64 v[4:5], -v[124:125], v[10:11], v[4:5]
	global_atomic_add_f64 v[110:111], v[32:33], off offset:56
	v_fma_f64 v[6:7], -v[126:127], v[10:11], v[6:7]
	v_mul_f64 v[10:11], v[126:127], v[10:11]
	global_atomic_add_f64 v[110:111], v[10:11], off offset:64
.LBB0_39:                               ;   in Loop: Header=BB0_26 Depth=1
	s_or_b64 exec, exec, s[10:11]
.LBB0_40:                               ;   in Loop: Header=BB0_26 Depth=1
	s_or_b64 exec, exec, s[8:9]
	s_andn2_b64 vcc, exec, s[38:39]
	s_cbranch_vccnz .LBB0_24
; %bb.41:                               ;   in Loop: Header=BB0_26 Depth=1
	global_load_dword v1, v[110:111], off offset:72
	s_waitcnt vmcnt(0)
	v_cmp_lt_i32_e32 vcc, v30, v1
	s_and_saveexec_b64 s[60:61], vcc
	s_cbranch_execz .LBB0_23
; %bb.42:                               ;   in Loop: Header=BB0_26 Depth=1
	global_load_dwordx2 v[10:11], v[110:111], off offset:40
	scratch_load_dwordx2 v[32:33], off, off offset:16 ; 8-byte Folded Reload
	s_mov_b32 s82, s84
	s_mov_b32 s36, 0
	s_waitcnt vmcnt(1)
	v_mul_f64 v[10:11], v[18:19], v[10:11]
	s_waitcnt vmcnt(0)
	v_mul_f64 v[10:11], v[32:33], v[10:11]
	v_mul_f64 v[118:119], v[10:11], s[82:83]
	s_branch .LBB0_44
.LBB0_43:                               ;   in Loop: Header=BB0_44 Depth=2
	s_add_i32 s36, s36, 1
	s_cmp_lg_u32 s36, 3
	s_cbranch_scc0 .LBB0_23
.LBB0_44:                               ;   Parent Loop BB0_26 Depth=1
                                        ; =>  This Loop Header: Depth=2
                                        ;       Child Loop BB0_47 Depth 3
                                        ;         Child Loop BB0_49 Depth 4
                                        ;       Child Loop BB0_59 Depth 3
	s_andn2_b64 vcc, exec, s[40:41]
	s_cbranch_vccnz .LBB0_43
; %bb.45:                               ;   in Loop: Header=BB0_44 Depth=2
	v_lshl_add_u64 v[120:121], s[36:37], 3, v[110:111]
	s_mov_b32 s81, 0
	s_cmp_lg_u32 s81, 0
	s_cselect_b32 s82, s31, 0
	s_cmp_gt_i32 s82, s30
	s_cbranch_scc1 .LBB0_59
.LBB0_46:                               ;   in Loop: Header=BB0_44 Depth=2
	v_cvt_f64_i32_e32 v[122:123], s81
.LBB0_47:                               ;   Parent Loop BB0_26 Depth=1
                                        ;     Parent Loop BB0_44 Depth=2
                                        ; =>    This Loop Header: Depth=3
                                        ;         Child Loop BB0_49 Depth 4
	s_or_b32 s6, s82, s81
	s_cmp_lg_u32 s6, 0
	s_cselect_b32 s62, s31, 1
	s_cmp_gt_i32 s62, s30
	s_cbranch_scc1 .LBB0_57
; %bb.48:                               ;   in Loop: Header=BB0_47 Depth=3
	s_mul_i32 s63, s82, s82
	s_mul_i32 s6, s81, s81
	s_add_i32 s63, s63, s6
	v_cvt_f64_i32_e32 v[124:125], s82
.LBB0_49:                               ;   Parent Loop BB0_26 Depth=1
                                        ;     Parent Loop BB0_44 Depth=2
                                        ;       Parent Loop BB0_47 Depth=3
                                        ; =>      This Inner Loop Header: Depth=4
	s_mul_i32 s6, s62, s62
	s_add_i32 s6, s63, s6
	s_mul_i32 s7, s30, s30
	s_cmp_gt_u32 s6, s7
	s_cbranch_scc1 .LBB0_55
; %bb.50:                               ;   in Loop: Header=BB0_49 Depth=4
	s_load_dwordx16 s[8:23], s[34:35], 0x0
	v_mov_b64_e32 v[36:37], s[84:85]
	v_cvt_f64_i32_e32 v[38:39], s62
	s_load_dwordx2 s[6:7], s[34:35], 0x40
                                        ; implicit-def: $vgpr23
	s_waitcnt lgkmcnt(0)
	v_mul_f64 v[10:11], s[8:9], v[36:37]
	v_fma_f64 v[10:11], v[10:11], v[122:123], 0
	v_mul_f64 v[32:33], s[14:15], v[36:37]
	v_fmac_f64_e32 v[10:11], v[32:33], v[124:125]
	v_mul_f64 v[32:33], s[20:21], v[36:37]
	v_fmac_f64_e32 v[10:11], v[32:33], v[38:39]
	v_mul_f64 v[32:33], s[10:11], v[36:37]
	v_fma_f64 v[34:35], v[32:33], v[122:123], 0
	v_mul_f64 v[32:33], s[16:17], v[36:37]
	v_fmac_f64_e32 v[34:35], v[32:33], v[124:125]
	v_mul_f64 v[32:33], s[22:23], v[36:37]
	v_fmac_f64_e32 v[34:35], v[32:33], v[38:39]
	v_mul_f64 v[32:33], s[12:13], v[36:37]
	v_fma_f64 v[32:33], v[32:33], v[122:123], 0
	v_mul_f64 v[40:41], s[18:19], v[36:37]
	v_fmac_f64_e32 v[32:33], v[40:41], v[124:125]
	v_mul_f64 v[36:37], s[6:7], v[36:37]
	v_mul_f64 v[126:127], v[114:115], v[34:35]
	v_fmac_f64_e32 v[32:33], v[36:37], v[38:39]
	v_fmac_f64_e32 v[126:127], v[112:113], v[10:11]
	s_mov_b32 s6, 0
	v_fmac_f64_e32 v[126:127], v[116:117], v[32:33]
	s_mov_b32 s7, 0x41d00000
	v_cmp_nlt_f64_e64 s[6:7], |v[126:127]|, s[6:7]
                                        ; implicit-def: $vgpr36_vgpr37
                                        ; implicit-def: $vgpr40_vgpr41
	s_and_saveexec_b64 s[8:9], s[6:7]
	s_xor_b64 s[8:9], exec, s[8:9]
	s_cbranch_execz .LBB0_52
; %bb.51:                               ;   in Loop: Header=BB0_49 Depth=4
	s_movk_i32 s6, 0xff80
	v_ldexp_f64 v[40:41], |v[126:127]|, s6
	s_mov_b32 s6, 0
	s_mov_b32 s7, 0x7b000000
	v_and_b32_e32 v1, 0x7fffffff, v127
	v_cmp_ge_f64_e64 vcc, |v[126:127]|, s[6:7]
	v_trig_preop_f64 v[36:37], |v[126:127]|, 0
	v_trig_preop_f64 v[38:39], |v[126:127]|, 1
	v_cndmask_b32_e32 v41, v1, v41, vcc
	v_cndmask_b32_e32 v40, v126, v40, vcc
	v_mul_f64 v[44:45], v[36:37], v[40:41]
	v_mul_f64 v[42:43], v[38:39], v[40:41]
	v_fma_f64 v[36:37], v[36:37], v[40:41], -v[44:45]
	v_add_f64 v[46:47], v[42:43], v[36:37]
	v_add_f64 v[54:55], v[46:47], -v[42:43]
	v_add_f64 v[36:37], v[36:37], -v[54:55]
	;; [unrolled: 1-line block ×4, first 2 shown]
	v_fma_f64 v[38:39], v[38:39], v[40:41], -v[42:43]
	v_trig_preop_f64 v[42:43], |v[126:127]|, 2
	v_add_f64 v[36:37], v[36:37], v[54:55]
	v_mul_f64 v[54:55], v[42:43], v[40:41]
	v_add_f64 v[56:57], v[54:55], v[38:39]
	v_add_f64 v[48:49], v[44:45], v[46:47]
	;; [unrolled: 1-line block ×3, first 2 shown]
	v_ldexp_f64 v[50:51], v[48:49], -2
	v_add_f64 v[44:45], v[48:49], -v[44:45]
	v_add_f64 v[48:49], v[58:59], -v[56:57]
	v_add_f64 v[36:37], v[36:37], -v[48:49]
	v_add_f64 v[48:49], v[58:59], -v[48:49]
	v_add_f64 v[48:49], v[56:57], -v[48:49]
	v_add_f64 v[36:37], v[36:37], v[48:49]
	v_add_f64 v[48:49], v[56:57], -v[54:55]
	v_add_f64 v[38:39], v[38:39], -v[48:49]
	;; [unrolled: 1-line block ×4, first 2 shown]
	v_add_f64 v[38:39], v[38:39], v[48:49]
	s_mov_b32 s6, 0
	v_fract_f64_e32 v[52:53], v[50:51]
	v_add_f64 v[36:37], v[38:39], v[36:37]
	v_fma_f64 v[38:39], v[42:43], v[40:41], -v[54:55]
	s_mov_b32 s7, 0x7ff00000
	v_add_f64 v[44:45], v[46:47], -v[44:45]
	v_add_f64 v[36:37], v[38:39], v[36:37]
	v_ldexp_f64 v[38:39], v[52:53], 2
	v_cmp_neq_f64_e64 vcc, |v[50:51]|, s[6:7]
	v_add_f64 v[46:47], v[44:45], v[58:59]
	v_mov_b32_e32 v1, 0x40100000
	v_cndmask_b32_e32 v39, 0, v39, vcc
	v_cndmask_b32_e32 v38, 0, v38, vcc
	v_add_f64 v[40:41], v[46:47], v[38:39]
	v_cmp_gt_f64_e32 vcc, 0, v[40:41]
	v_add_f64 v[44:45], v[46:47], -v[44:45]
	v_add_f64 v[44:45], v[58:59], -v[44:45]
	v_cndmask_b32_e32 v1, 0, v1, vcc
	v_add_f64 v[38:39], v[38:39], v[0:1]
	v_add_f64 v[40:41], v[46:47], v[38:39]
	v_cvt_i32_f64_e32 v1, v[40:41]
	v_cvt_f64_i32_e32 v[40:41], v1
	v_add_f64 v[38:39], v[38:39], -v[40:41]
	v_add_f64 v[40:41], v[46:47], v[38:39]
	v_cmp_le_f64_e32 vcc, 0.5, v[40:41]
	v_add_f64 v[38:39], v[40:41], -v[38:39]
	v_add_f64 v[36:37], v[44:45], v[36:37]
	v_addc_co_u32_e64 v23, s[6:7], 0, v1, vcc
	v_mov_b32_e32 v1, 0x3ff00000
	v_add_f64 v[38:39], v[46:47], -v[38:39]
	v_cndmask_b32_e32 v1, 0, v1, vcc
	v_add_f64 v[36:37], v[36:37], v[38:39]
	v_add_f64 v[38:39], v[40:41], -v[0:1]
	v_add_f64 v[40:41], v[38:39], v[36:37]
	v_add_f64 v[38:39], v[40:41], -v[38:39]
	s_mov_b32 s86, s84
	v_add_f64 v[36:37], v[36:37], -v[38:39]
	v_mul_f64 v[38:39], v[40:41], s[86:87]
	v_fma_f64 v[42:43], v[40:41], s[86:87], -v[38:39]
	s_mov_b32 s91, s89
	v_fmac_f64_e32 v[42:43], s[90:91], v[40:41]
	v_fmac_f64_e32 v[42:43], s[86:87], v[36:37]
	v_add_f64 v[36:37], v[38:39], v[42:43]
	v_add_f64 v[38:39], v[36:37], -v[38:39]
	v_add_f64 v[40:41], v[42:43], -v[38:39]
.LBB0_52:                               ;   in Loop: Header=BB0_49 Depth=4
	s_andn2_saveexec_b64 s[6:7], s[8:9]
	s_cbranch_execz .LBB0_54
; %bb.53:                               ;   in Loop: Header=BB0_49 Depth=4
	v_mul_f64 v[36:37], |v[126:127]|, s[92:93]
	v_rndne_f64_e32 v[38:39], v[36:37]
	s_mov_b32 s94, s84
	v_fma_f64 v[36:37], v[38:39], s[94:95], |v[126:127]|
	v_mul_f64 v[42:43], v[38:39], s[96:97]
	v_add_f64 v[46:47], v[36:37], v[42:43]
	v_fma_f64 v[40:41], s[96:97], v[38:39], v[36:37]
	s_mov_b32 s88, s96
	v_add_f64 v[36:37], v[36:37], -v[46:47]
	v_fma_f64 v[44:45], s[88:89], v[38:39], v[42:43]
	v_add_f64 v[36:37], v[36:37], v[42:43]
	v_add_f64 v[42:43], v[46:47], -v[40:41]
	v_add_f64 v[36:37], v[42:43], v[36:37]
	v_add_f64 v[42:43], v[36:37], -v[44:45]
	v_fmac_f64_e32 v[42:43], s[98:99], v[38:39]
	v_add_f64 v[36:37], v[40:41], v[42:43]
	v_add_f64 v[40:41], v[36:37], -v[40:41]
	v_add_f64 v[40:41], v[42:43], -v[40:41]
	v_cvt_i32_f64_e32 v23, v[38:39]
.LBB0_54:                               ;   in Loop: Header=BB0_49 Depth=4
	s_or_b64 exec, exec, s[6:7]
	v_mul_f64 v[38:39], v[34:35], v[34:35]
	v_fmac_f64_e32 v[38:39], v[10:11], v[10:11]
	s_cmp_eq_u32 s36, 1
	v_fmac_f64_e32 v[38:39], v[32:33], v[32:33]
	s_cselect_b64 s[6:7], -1, 0
	v_cndmask_b32_e64 v1, v10, v34, s[6:7]
	v_cndmask_b32_e64 v31, v11, v35, s[6:7]
	v_div_scale_f64 v[10:11], s[8:9], v[16:17], v[16:17], -v[38:39]
	v_rcp_f64_e32 v[34:35], v[10:11]
	v_mov_b64_e32 v[46:47], v[76:77]
	s_cmp_eq_u32 s36, 2
	s_cselect_b64 s[8:9], -1, 0
	v_fma_f64 v[42:43], -v[10:11], v[34:35], 1.0
	v_fmac_f64_e32 v[34:35], v[34:35], v[42:43]
	v_fma_f64 v[42:43], -v[10:11], v[34:35], 1.0
	v_fmac_f64_e32 v[34:35], v[34:35], v[42:43]
	v_div_scale_f64 v[42:43], vcc, -v[38:39], v[16:17], -v[38:39]
	v_mul_f64 v[44:45], v[42:43], v[34:35]
	v_fma_f64 v[10:11], -v[10:11], v[44:45], v[42:43]
	v_cndmask_b32_e64 v32, v1, v32, s[8:9]
	s_nop 0
	v_div_fmas_f64 v[10:11], v[10:11], v[34:35], v[44:45]
	v_div_fixup_f64 v[10:11], v[10:11], v[16:17], -v[38:39]
	v_mul_f64 v[34:35], v[10:11], s[44:45]
	v_rndne_f64_e32 v[34:35], v[34:35]
	v_fma_f64 v[42:43], s[46:47], v[34:35], v[10:11]
	v_fmac_f64_e32 v[42:43], s[48:49], v[34:35]
	v_mov_b64_e32 v[44:45], v[74:75]
	v_fmac_f64_e32 v[44:45], s[54:55], v[42:43]
	v_fmac_f64_e32 v[46:47], v[42:43], v[44:45]
	v_mov_b64_e32 v[44:45], v[78:79]
	v_fmac_f64_e32 v[44:45], v[42:43], v[46:47]
	v_mov_b64_e32 v[46:47], v[80:81]
	;; [unrolled: 2-line block ×7, first 2 shown]
	v_fmac_f64_e32 v[44:45], v[42:43], v[46:47]
	v_fma_f64 v[44:45], v[42:43], v[44:45], 1.0
	v_fma_f64 v[42:43], v[42:43], v[44:45], 1.0
	v_cvt_i32_f64_e32 v1, v[34:35]
	v_ldexp_f64 v[34:35], v[42:43], v1
	v_cmp_nlt_f64_e32 vcc, s[72:73], v[10:11]
	v_cmp_ngt_f64_e64 s[10:11], s[74:75], v[10:11]
	v_cndmask_b32_e64 v33, v31, v33, s[8:9]
	v_cndmask_b32_e32 v1, v22, v35, vcc
	s_and_b64 vcc, s[10:11], vcc
	v_mul_f64 v[32:33], v[118:119], v[32:33]
	v_cndmask_b32_e64 v11, 0, v1, s[10:11]
	v_cndmask_b32_e32 v10, 0, v34, vcc
	v_mul_f64 v[10:11], v[32:33], v[10:11]
	v_mul_f64 v[32:33], v[36:37], v[36:37]
	v_mov_b64_e32 v[46:47], v[92:93]
	v_mul_f64 v[34:35], v[32:33], 0.5
	v_fmac_f64_e32 v[46:47], s[50:51], v[32:33]
	v_mov_b64_e32 v[48:49], v[94:95]
	v_add_f64 v[42:43], -v[34:35], 1.0
	v_fmac_f64_e32 v[48:49], v[32:33], v[46:47]
	v_mov_b64_e32 v[46:47], v[96:97]
	v_add_f64 v[44:45], -v[42:43], 1.0
	v_fmac_f64_e32 v[46:47], v[32:33], v[48:49]
	v_mov_b64_e32 v[48:49], v[98:99]
	v_mov_b32_e32 v107, v87
	v_add_f64 v[34:35], v[44:45], -v[34:35]
	v_fmac_f64_e32 v[48:49], v[32:33], v[46:47]
	v_mov_b64_e32 v[46:47], v[106:107]
	v_mul_f64 v[44:45], v[32:33], v[32:33]
	v_fmac_f64_e32 v[46:47], v[32:33], v[48:49]
	v_fma_f64 v[34:35], v[36:37], -v[40:41], v[34:35]
	v_fmac_f64_e32 v[34:35], v[44:45], v[46:47]
	v_add_f64 v[34:35], v[42:43], v[34:35]
	v_mov_b64_e32 v[42:43], v[100:101]
	v_fmac_f64_e32 v[42:43], s[78:79], v[32:33]
	v_mov_b64_e32 v[44:45], v[102:103]
	v_fmac_f64_e32 v[44:45], v[32:33], v[42:43]
	v_mov_b64_e32 v[42:43], v[104:105]
	v_mov_b32_e32 v109, v85
	v_fmac_f64_e32 v[42:43], v[32:33], v[44:45]
	v_mov_b64_e32 v[44:45], v[108:109]
	v_fmac_f64_e32 v[44:45], v[32:33], v[42:43]
	v_mul_f64 v[42:43], v[36:37], -v[32:33]
	v_mul_f64 v[46:47], v[40:41], 0.5
	v_fmac_f64_e32 v[46:47], v[42:43], v[44:45]
	v_fma_f64 v[32:33], v[32:33], v[46:47], -v[40:41]
	v_fmac_f64_e32 v[32:33], s[76:77], v[42:43]
	v_and_b32_e32 v1, 1, v23
	v_add_f64 v[32:33], v[36:37], -v[32:33]
	v_cmp_eq_u32_e32 vcc, 0, v1
	v_lshlrev_b32_e32 v23, 30, v23
	v_xor_b32_e32 v23, v23, v127
	v_cndmask_b32_e32 v31, v35, v33, vcc
	s_brev_b32 s10, 1
	v_bitop3_b32 v23, v31, v23, s10 bitop3:0x78
	s_movk_i32 s10, 0x1f8
	v_cndmask_b32_e32 v1, v34, v32, vcc
	v_cmp_class_f64_e64 vcc, v[126:127], s10
	s_cmp_eq_u32 s36, 0
	s_nop 0
	v_cndmask_b32_e32 v32, 0, v1, vcc
	v_mov_b32_e32 v1, 0x7ff80000
	v_cndmask_b32_e32 v33, v1, v23, vcc
	v_mul_f64 v[10:11], v[10:11], v[32:33]
	v_div_scale_f64 v[32:33], s[10:11], v[38:39], v[38:39], v[10:11]
	v_rcp_f64_e32 v[34:35], v[32:33]
	v_cndmask_b32_e64 v1, v3, v5, s[6:7]
	v_fma_f64 v[36:37], -v[32:33], v[34:35], 1.0
	v_fmac_f64_e32 v[34:35], v[34:35], v[36:37]
	v_fma_f64 v[36:37], -v[32:33], v[34:35], 1.0
	v_fmac_f64_e32 v[34:35], v[34:35], v[36:37]
	v_div_scale_f64 v[36:37], vcc, v[10:11], v[38:39], v[10:11]
	v_mul_f64 v[40:41], v[36:37], v[34:35]
	v_fma_f64 v[32:33], -v[32:33], v[40:41], v[36:37]
	s_nop 1
	v_div_fmas_f64 v[32:33], v[32:33], v[34:35], v[40:41]
	v_div_fixup_f64 v[10:11], v[32:33], v[38:39], v[10:11]
	v_mul_f64 v[32:33], v[10:11], -2.0
	global_atomic_add_f64 v[120:121], v[32:33], off offset:48
	v_cndmask_b32_e64 v33, v1, v7, s[8:9]
	v_cndmask_b32_e64 v1, v2, v4, s[6:7]
	;; [unrolled: 1-line block ×3, first 2 shown]
	v_fmac_f64_e32 v[32:33], 2.0, v[10:11]
	s_cselect_b64 vcc, -1, 0
	v_cndmask_b32_e64 v7, v7, v33, s[8:9]
	v_cndmask_b32_e64 v6, v6, v32, s[8:9]
	;; [unrolled: 1-line block ×4, first 2 shown]
	v_cndmask_b32_e32 v3, v3, v33, vcc
	v_cndmask_b32_e32 v2, v2, v32, vcc
.LBB0_55:                               ;   in Loop: Header=BB0_49 Depth=4
	s_add_i32 s6, s62, 1
	s_cmp_lt_i32 s62, s30
	s_cbranch_scc0 .LBB0_57
; %bb.56:                               ;   in Loop: Header=BB0_49 Depth=4
	s_mov_b32 s62, s6
	s_branch .LBB0_49
.LBB0_57:                               ;   in Loop: Header=BB0_47 Depth=3
	s_add_i32 s6, s82, 1
	s_cmp_lt_i32 s82, s30
	s_cbranch_scc0 .LBB0_59
; %bb.58:                               ;   in Loop: Header=BB0_47 Depth=3
	s_mov_b32 s82, s6
	s_branch .LBB0_47
.LBB0_59:                               ;   Parent Loop BB0_26 Depth=1
                                        ;     Parent Loop BB0_44 Depth=2
                                        ; =>    This Inner Loop Header: Depth=3
	s_add_i32 s6, s81, 1
	s_cmp_lg_u32 s81, s30
	s_cbranch_scc0 .LBB0_43
; %bb.60:                               ;   in Loop: Header=BB0_59 Depth=3
	s_mov_b32 s81, s6
	s_cmp_lg_u32 s81, 0
	s_cselect_b32 s82, s31, 0
	s_cmp_gt_i32 s82, s30
	s_cbranch_scc0 .LBB0_46
	s_branch .LBB0_59
.LBB0_61:
	v_mov_b32_e32 v2, 0
	v_mov_b32_e32 v3, v2
	;; [unrolled: 1-line block ×6, first 2 shown]
.LBB0_62:
	global_atomic_add_f64 v[28:29], v[2:3], off offset:48
	global_atomic_add_f64 v[28:29], v[4:5], off offset:56
	;; [unrolled: 1-line block ×3, first 2 shown]
	s_cmp_lg_u32 s64, 2
	s_cbranch_scc1 .LBB0_81
.LBB0_63:
	v_cmp_gt_i32_e32 vcc, s33, v20
	s_and_b64 exec, exec, vcc
	s_cbranch_execz .LBB0_81
; %bb.64:
	v_mul_f64 v[0:1], s[24:25], s[24:25]
	v_div_scale_f64 v[2:3], s[2:3], v[0:1], v[0:1], 1.0
	v_rcp_f64_e32 v[4:5], v[2:3]
	v_div_scale_f64 v[6:7], vcc, 1.0, v[0:1], 1.0
	s_load_dwordx2 s[20:21], s[0:1], 0x40
	v_fma_f64 v[10:11], -v[2:3], v[4:5], 1.0
	v_fmac_f64_e32 v[4:5], v[4:5], v[10:11]
	v_fma_f64 v[10:11], -v[2:3], v[4:5], 1.0
	v_fmac_f64_e32 v[4:5], v[4:5], v[10:11]
	v_mul_f64 v[10:11], v[6:7], v[4:5]
	v_fma_f64 v[2:3], -v[2:3], v[10:11], v[6:7]
	v_div_fmas_f64 v[2:3], v[2:3], v[4:5], v[10:11]
	v_div_fixup_f64 v[4:5], v[2:3], v[0:1], 1.0
	scratch_load_dwordx4 v[0:3], off, off   ; 16-byte Folded Reload
	s_waitcnt vmcnt(0) lgkmcnt(0)
	v_mul_f64 v[0:1], s[20:21], 0.5
	v_mul_f64 v[6:7], s[20:21], v[0:1]
	s_movk_i32 s4, 0x70
	v_mov_b64_e32 v[0:1], s[52:53]
	v_mul_f64 v[10:11], s[20:21], s[20:21]
	v_mad_i64_i32 v[0:1], s[4:5], v20, s4, v[0:1]
	s_mov_b32 s28, 0
	s_mov_b32 s30, 0
	;; [unrolled: 1-line block ×11, first 2 shown]
	s_mov_b64 s[22:23], 0
	v_cmp_neq_f64_e64 s[2:3], 0, v[18:19]
	v_mul_f64 v[16:17], s[20:21], v[10:11]
	v_lshl_add_u64 v[22:23], v[0:1], 0, 56
	s_brev_b32 s29, 8
	v_mov_b32_e32 v21, 0x260
	s_mov_b32 s31, 0xc0080000
	s_mov_b32 s53, 0x3ff71547
	;; [unrolled: 1-line block ×10, first 2 shown]
	s_mov_b64 s[70:71], 0x70
	v_mov_b32_e32 v31, 0x100
	v_mov_b32_e32 v80, 0xffffff80
	;; [unrolled: 1-line block ×21, first 2 shown]
	v_cmp_neq_f64_e64 s[0:1], 0, v[2:3]
	s_branch .LBB0_68
.LBB0_65:                               ;   in Loop: Header=BB0_68 Depth=1
	s_or_b64 exec, exec, s[8:9]
.LBB0_66:                               ;   in Loop: Header=BB0_68 Depth=1
	s_or_b64 exec, exec, s[6:7]
	global_atomic_add_f64 v[28:29], v[60:61], off offset:48
	v_xor_b32_e32 v61, 0x80000000, v61
	global_atomic_add_f64 v[22:23], v[60:61], off offset:-8
	global_atomic_add_f64 v[28:29], v[62:63], off offset:56
	v_xor_b32_e32 v63, 0x80000000, v63
	global_atomic_add_f64 v[22:23], v[62:63], off
	global_atomic_add_f64 v[28:29], v[64:65], off offset:64
	v_xor_b32_e32 v65, 0x80000000, v65
	global_atomic_add_f64 v[22:23], v[64:65], off offset:8
.LBB0_67:                               ;   in Loop: Header=BB0_68 Depth=1
	s_or_b64 exec, exec, s[72:73]
	v_add_u32_e32 v20, 1, v20
	v_cmp_le_i32_e32 vcc, s33, v20
	s_or_b64 s[22:23], vcc, s[22:23]
	v_lshl_add_u64 v[22:23], v[22:23], 0, s[70:71]
	s_andn2_b64 exec, exec, s[22:23]
	s_cbranch_execz .LBB0_81
.LBB0_68:                               ; =>This Inner Loop Header: Depth=1
	global_load_dword v0, v[22:23], off offset:16
	s_waitcnt vmcnt(0)
	v_cmp_ne_u32_e32 vcc, v30, v0
	s_and_saveexec_b64 s[72:73], vcc
	s_cbranch_execz .LBB0_67
; %bb.69:                               ;   in Loop: Header=BB0_68 Depth=1
	global_load_dwordx4 v[0:3], v[22:23], off offset:-56
	global_load_dwordx2 v[50:51], v[22:23], off offset:-40
	s_load_dwordx16 s[4:19], s[34:35], 0x0
	s_load_dwordx2 s[74:75], s[34:35], 0x40
	s_load_dwordx16 s[36:51], s[26:27], 0x0
	s_load_dwordx2 s[76:77], s[26:27], 0x40
	s_waitcnt vmcnt(1)
	v_add_f64 v[0:1], v[12:13], -v[0:1]
	v_add_f64 v[2:3], v[14:15], -v[2:3]
	s_waitcnt vmcnt(0)
	v_add_f64 v[56:57], v[8:9], -v[50:51]
	s_waitcnt lgkmcnt(0)
	v_fma_f64 v[50:51], s[4:5], v[0:1], 0
	v_fma_f64 v[52:53], s[10:11], v[0:1], 0
	v_fmac_f64_e32 v[50:51], s[6:7], v[2:3]
	v_fma_f64 v[54:55], s[16:17], v[0:1], 0
	v_fmac_f64_e32 v[52:53], s[12:13], v[2:3]
	v_fmac_f64_e32 v[50:51], s[8:9], v[56:57]
	;; [unrolled: 1-line block ×4, first 2 shown]
	v_rndne_f64_e32 v[50:51], v[50:51]
	v_fmac_f64_e32 v[54:55], s[74:75], v[56:57]
	v_rndne_f64_e32 v[52:53], v[52:53]
	v_fma_f64 v[60:61], v[50:51], s[42:43], 0
	v_rndne_f64_e32 v[54:55], v[54:55]
	v_fma_f64 v[58:59], v[50:51], s[36:37], 0
	v_fmac_f64_e32 v[60:61], s[44:45], v[52:53]
	v_fma_f64 v[50:51], v[50:51], s[48:49], 0
	v_fmac_f64_e32 v[58:59], s[38:39], v[52:53]
	v_fmac_f64_e32 v[60:61], s[46:47], v[54:55]
	;; [unrolled: 1-line block ×4, first 2 shown]
	v_add_f64 v[52:53], v[2:3], -v[60:61]
	v_fmac_f64_e32 v[50:51], s[76:77], v[54:55]
	v_add_f64 v[54:55], v[0:1], -v[58:59]
	v_mul_f64 v[58:59], v[52:53], v[52:53]
	v_add_f64 v[50:51], v[56:57], -v[50:51]
	v_fmac_f64_e32 v[58:59], v[54:55], v[54:55]
	v_fmac_f64_e32 v[58:59], v[50:51], v[50:51]
	v_cmp_nle_f64_e32 vcc, 0, v[58:59]
	s_and_saveexec_b64 s[4:5], vcc
; %bb.70:                               ;   in Loop: Header=BB0_68 Depth=1
	v_mul_f64 v[58:59], v[2:3], v[2:3]
	v_fmac_f64_e32 v[58:59], v[0:1], v[0:1]
	v_fmac_f64_e32 v[58:59], v[56:57], v[56:57]
	v_mov_b64_e32 v[54:55], v[0:1]
	v_mov_b64_e32 v[52:53], v[2:3]
	;; [unrolled: 1-line block ×3, first 2 shown]
; %bb.71:                               ;   in Loop: Header=BB0_68 Depth=1
	s_or_b64 exec, exec, s[4:5]
	v_cmp_gt_f64_e32 vcc, s[28:29], v[58:59]
	s_nop 1
	v_cndmask_b32_e32 v0, 0, v31, vcc
	v_ldexp_f64 v[0:1], v[58:59], v0
	v_rsq_f64_e32 v[2:3], v[0:1]
	s_nop 0
	v_mul_f64 v[56:57], v[0:1], v[2:3]
	v_mul_f64 v[2:3], v[2:3], 0.5
	v_fma_f64 v[58:59], -v[2:3], v[56:57], 0.5
	v_fmac_f64_e32 v[56:57], v[56:57], v[58:59]
	v_fmac_f64_e32 v[2:3], v[2:3], v[58:59]
	v_fma_f64 v[58:59], -v[56:57], v[56:57], v[0:1]
	v_fmac_f64_e32 v[56:57], v[58:59], v[2:3]
	v_fma_f64 v[58:59], -v[56:57], v[56:57], v[0:1]
	v_fmac_f64_e32 v[56:57], v[58:59], v[2:3]
	v_cndmask_b32_e32 v2, 0, v80, vcc
	v_ldexp_f64 v[2:3], v[56:57], v2
	v_cmp_class_f64_e32 vcc, v[0:1], v21
	s_nop 1
	v_cndmask_b32_e32 v57, v3, v1, vcc
	v_cndmask_b32_e32 v56, v2, v0, vcc
	v_cmp_nlt_f64_e32 vcc, s[24:25], v[56:57]
	s_and_b64 exec, exec, vcc
	s_cbranch_execz .LBB0_67
; %bb.72:                               ;   in Loop: Header=BB0_68 Depth=1
	global_load_dwordx2 v[78:79], v[22:23], off offset:-16
	global_load_dwordx4 v[0:3], v[22:23], off offset:24
	global_load_dwordx2 v[58:59], v[22:23], off offset:40
	v_div_scale_f64 v[64:65], s[4:5], v[56:57], v[56:57], 1.0
	v_rcp_f64_e32 v[68:69], v[64:65]
	v_div_scale_f64 v[66:67], vcc, 1.0, v[56:57], 1.0
	v_mul_f64 v[72:73], v[52:53], v[52:53]
	v_fma_f64 v[70:71], -v[64:65], v[68:69], 1.0
	v_fmac_f64_e32 v[68:69], v[68:69], v[70:71]
	v_fma_f64 v[70:71], -v[64:65], v[68:69], 1.0
	v_fmac_f64_e32 v[68:69], v[68:69], v[70:71]
	v_mul_f64 v[70:71], v[66:67], v[68:69]
	v_fma_f64 v[64:65], -v[64:65], v[70:71], v[66:67]
	v_div_fmas_f64 v[64:65], v[64:65], v[68:69], v[70:71]
	v_div_fixup_f64 v[66:67], v[64:65], v[56:57], 1.0
	v_mul_f64 v[70:71], v[66:67], v[66:67]
	v_mul_f64 v[74:75], v[54:55], v[54:55]
	;; [unrolled: 1-line block ×3, first 2 shown]
	v_mov_b64_e32 v[60:61], 0
	v_mov_b64_e32 v[62:63], 0
	v_mul_f64 v[68:69], v[66:67], v[70:71]
	v_mov_b64_e32 v[64:65], 0
	s_waitcnt vmcnt(2)
	v_cmp_neq_f64_e32 vcc, 0, v[78:79]
	s_and_b64 s[6:7], vcc, s[0:1]
	s_and_saveexec_b64 s[4:5], s[6:7]
	s_cbranch_execnz .LBB0_75
; %bb.73:                               ;   in Loop: Header=BB0_68 Depth=1
	s_or_b64 exec, exec, s[4:5]
	s_and_saveexec_b64 s[4:5], s[2:3]
	s_cbranch_execnz .LBB0_76
.LBB0_74:                               ;   in Loop: Header=BB0_68 Depth=1
	s_or_b64 exec, exec, s[4:5]
	s_and_saveexec_b64 s[6:7], s[0:1]
	s_cbranch_execz .LBB0_66
	s_branch .LBB0_79
.LBB0_75:                               ;   in Loop: Header=BB0_68 Depth=1
	scratch_load_dwordx4 v[86:89], off, off ; 16-byte Folded Reload
	v_fma_f64 v[60:61], -2.0, v[74:75], v[72:73]
	v_add_f64 v[62:63], v[72:73], v[76:77]
	v_add_f64 v[60:61], v[76:77], v[60:61]
	v_mul_f64 v[62:63], v[4:5], v[62:63]
	v_fma_f64 v[60:61], v[70:71], v[60:61], -v[62:63]
	v_mul_f64 v[62:63], v[54:55], s[30:31]
	v_mul_f64 v[64:65], v[68:69], v[78:79]
	;; [unrolled: 1-line block ×7, first 2 shown]
	v_fmac_f64_e32 v[78:79], v[52:53], v[82:83]
	v_fmac_f64_e32 v[84:85], v[50:51], v[82:83]
	v_fma_f64 v[62:63], -2.0, v[72:73], v[74:75]
	v_add_f64 v[82:83], v[74:75], v[76:77]
	v_add_f64 v[62:63], v[76:77], v[62:63]
	v_mul_f64 v[82:83], v[4:5], v[82:83]
	v_fma_f64 v[62:63], v[70:71], v[62:63], -v[82:83]
	v_mul_f64 v[60:61], v[24:25], v[60:61]
	v_mul_f64 v[62:63], v[26:27], v[62:63]
	v_fmac_f64_e32 v[60:61], v[26:27], v[78:79]
	v_fmac_f64_e32 v[62:63], v[24:25], v[78:79]
	v_mul_f64 v[78:79], v[52:53], s[30:31]
	v_mul_f64 v[78:79], v[50:51], v[78:79]
	;; [unrolled: 1-line block ×4, first 2 shown]
	v_fmac_f64_e32 v[78:79], v[50:51], v[82:83]
	v_fma_f64 v[82:83], -2.0, v[76:77], v[74:75]
	v_add_f64 v[82:83], v[72:73], v[82:83]
	s_waitcnt vmcnt(0)
	v_fmac_f64_e32 v[62:63], v[86:87], v[78:79]
	v_mul_f64 v[78:79], v[26:27], v[78:79]
	v_fmac_f64_e32 v[60:61], v[86:87], v[84:85]
	v_fmac_f64_e32 v[78:79], v[24:25], v[84:85]
	v_add_f64 v[84:85], v[74:75], v[72:73]
	v_mul_f64 v[84:85], v[4:5], v[84:85]
	v_fma_f64 v[82:83], v[70:71], v[82:83], -v[84:85]
	v_fmac_f64_e32 v[78:79], v[86:87], v[82:83]
	v_fma_f64 v[60:61], v[60:61], v[64:65], 0
	v_fma_f64 v[62:63], v[62:63], v[64:65], 0
	;; [unrolled: 1-line block ×3, first 2 shown]
	s_or_b64 exec, exec, s[4:5]
	s_and_saveexec_b64 s[4:5], s[2:3]
	s_cbranch_execz .LBB0_74
.LBB0_76:                               ;   in Loop: Header=BB0_68 Depth=1
	global_load_dwordx2 v[78:79], v[22:23], off offset:48
	s_waitcnt vmcnt(0)
	v_cmp_neq_f64_e32 vcc, 0, v[78:79]
	s_and_saveexec_b64 s[6:7], vcc
	s_cbranch_execz .LBB0_78
; %bb.77:                               ;   in Loop: Header=BB0_68 Depth=1
	v_fma_f64 v[82:83], -2.0, v[74:75], v[72:73]
	v_add_f64 v[84:85], v[72:73], v[76:77]
	v_add_f64 v[82:83], v[76:77], v[82:83]
	v_mul_f64 v[84:85], v[4:5], v[84:85]
	v_fma_f64 v[82:83], v[70:71], v[82:83], -v[84:85]
	v_mul_f64 v[84:85], v[54:55], s[30:31]
	v_mul_f64 v[86:87], v[52:53], v[84:85]
	;; [unrolled: 1-line block ×4, first 2 shown]
	v_fmac_f64_e32 v[86:87], v[52:53], v[88:89]
	v_mul_f64 v[90:91], v[86:87], v[2:3]
	v_fmac_f64_e32 v[90:91], v[82:83], v[0:1]
	v_mul_f64 v[82:83], v[50:51], v[84:85]
	v_mul_f64 v[82:83], v[70:71], v[82:83]
	v_fmac_f64_e32 v[82:83], v[50:51], v[88:89]
	v_fma_f64 v[84:85], -2.0, v[72:73], v[74:75]
	v_add_f64 v[88:89], v[74:75], v[76:77]
	v_add_f64 v[84:85], v[76:77], v[84:85]
	v_mul_f64 v[88:89], v[4:5], v[88:89]
	v_fma_f64 v[84:85], v[70:71], v[84:85], -v[88:89]
	v_mul_f64 v[84:85], v[84:85], v[2:3]
	v_fmac_f64_e32 v[84:85], v[86:87], v[0:1]
	v_mul_f64 v[86:87], v[52:53], s[30:31]
	v_mul_f64 v[86:87], v[50:51], v[86:87]
	;; [unrolled: 1-line block ×4, first 2 shown]
	v_fmac_f64_e32 v[86:87], v[50:51], v[88:89]
	v_fma_f64 v[76:77], -2.0, v[76:77], v[74:75]
	v_mul_f64 v[78:79], v[68:69], v[18:19]
	v_fmac_f64_e32 v[84:85], v[86:87], v[58:59]
	v_add_f64 v[76:77], v[72:73], v[76:77]
	v_add_f64 v[72:73], v[74:75], v[72:73]
	v_fma_f64 v[62:63], -v[78:79], v[84:85], v[62:63]
	v_mul_f64 v[84:85], v[86:87], v[2:3]
	v_mul_f64 v[72:73], v[4:5], v[72:73]
	v_fmac_f64_e32 v[84:85], v[82:83], v[0:1]
	v_fma_f64 v[72:73], v[70:71], v[76:77], -v[72:73]
	v_fmac_f64_e32 v[90:91], v[82:83], v[58:59]
	v_fmac_f64_e32 v[84:85], v[72:73], v[58:59]
	v_fma_f64 v[60:61], -v[78:79], v[90:91], v[60:61]
	v_fma_f64 v[64:65], -v[78:79], v[84:85], v[64:65]
.LBB0_78:                               ;   in Loop: Header=BB0_68 Depth=1
	s_or_b64 exec, exec, s[6:7]
	s_or_b64 exec, exec, s[4:5]
	s_and_saveexec_b64 s[6:7], s[0:1]
	s_cbranch_execz .LBB0_66
.LBB0_79:                               ;   in Loop: Header=BB0_68 Depth=1
	global_load_dwordx2 v[72:73], v[22:23], off offset:48
	s_waitcnt vmcnt(0)
	v_cmp_neq_f64_e32 vcc, 0, v[72:73]
	s_and_saveexec_b64 s[8:9], vcc
	s_cbranch_execz .LBB0_65
; %bb.80:                               ;   in Loop: Header=BB0_68 Depth=1
	scratch_load_dwordx4 v[96:99], off, off ; 16-byte Folded Reload
	v_mul_f64 v[86:87], v[56:57], -s[20:21]
	v_mul_f64 v[88:89], v[86:87], s[52:53]
	v_rndne_f64_e32 v[88:89], v[88:89]
	v_fma_f64 v[90:91], s[54:55], v[88:89], v[86:87]
	v_fmac_f64_e32 v[90:91], s[56:57], v[88:89]
	v_mov_b64_e32 v[92:93], v[32:33]
	v_fmac_f64_e32 v[92:93], s[58:59], v[90:91]
	v_mov_b64_e32 v[94:95], v[34:35]
	;; [unrolled: 2-line block ×9, first 2 shown]
	v_mul_f64 v[72:73], v[56:57], v[56:57]
	v_fmac_f64_e32 v[92:93], v[90:91], v[94:95]
	v_mul_f64 v[74:75], v[56:57], v[72:73]
	v_fma_f64 v[92:93], v[90:91], v[92:93], 1.0
	v_fma_f64 v[90:91], v[90:91], v[92:93], 1.0
	v_cvt_i32_f64_e32 v88, v[88:89]
	v_mul_f64 v[74:75], v[16:17], v[74:75]
	v_ldexp_f64 v[88:89], v[90:91], v88
	v_div_scale_f64 v[90:91], s[10:11], s[64:65], s[64:65], v[74:75]
	v_rcp_f64_e32 v[92:93], v[90:91]
	v_cmp_nlt_f64_e32 vcc, s[60:61], v[86:87]
	v_cmp_ngt_f64_e64 s[4:5], s[62:63], v[86:87]
	v_mul_f64 v[76:77], v[70:71], v[68:69]
	v_cndmask_b32_e32 v89, v81, v89, vcc
	s_and_b64 vcc, s[4:5], vcc
	v_cndmask_b32_e64 v87, 0, v89, s[4:5]
	v_cndmask_b32_e32 v86, 0, v88, vcc
	v_fma_f64 v[88:89], s[20:21], v[56:57], 1.0
	v_fmac_f64_e32 v[88:89], v[6:7], v[72:73]
	v_fma_f64 v[72:73], -v[90:91], v[92:93], 1.0
	v_fmac_f64_e32 v[92:93], v[92:93], v[72:73]
	v_fma_f64 v[72:73], -v[90:91], v[92:93], 1.0
	v_fmac_f64_e32 v[92:93], v[92:93], v[72:73]
	v_div_scale_f64 v[72:73], vcc, v[74:75], s[64:65], v[74:75]
	v_mul_f64 v[94:95], v[72:73], v[92:93]
	v_mul_f64 v[82:83], v[26:27], v[52:53]
	v_fma_f64 v[72:73], -v[90:91], v[94:95], v[72:73]
	v_mul_f64 v[70:71], v[70:71], v[76:77]
	v_fmac_f64_e32 v[82:83], v[24:25], v[54:55]
	v_mul_f64 v[84:85], v[52:53], v[2:3]
	v_div_fmas_f64 v[72:73], v[72:73], v[92:93], v[94:95]
	v_mul_f64 v[78:79], v[26:27], v[2:3]
	v_fmac_f64_e32 v[84:85], v[54:55], v[0:1]
	v_div_fixup_f64 v[72:73], v[72:73], s[64:65], v[74:75]
	v_mul_f64 v[70:71], v[70:71], s[68:69]
	v_fmac_f64_e32 v[78:79], v[24:25], v[0:1]
	v_fmac_f64_e32 v[84:85], v[50:51], v[58:59]
	v_add_f64 v[72:73], v[88:89], v[72:73]
	v_mul_f64 v[56:57], v[56:57], 0.5
	v_mul_f64 v[74:75], v[76:77], s[66:67]
	v_fma_f64 v[92:93], -v[72:73], v[86:87], 1.0
	v_mul_f64 v[56:57], s[20:21], v[56:57]
	v_fma_f64 v[90:91], -v[88:89], v[86:87], 1.0
	v_mul_f64 v[56:57], s[20:21], v[56:57]
	s_waitcnt vmcnt(0)
	v_fmac_f64_e32 v[82:83], v[96:97], v[50:51]
	v_mul_f64 v[70:71], v[82:83], v[70:71]
	v_fmac_f64_e32 v[78:79], v[96:97], v[58:59]
	v_mul_f64 v[70:71], v[70:71], v[84:85]
	v_mul_f64 v[76:77], v[74:75], v[78:79]
	;; [unrolled: 1-line block ×3, first 2 shown]
	v_mul_f64 v[68:69], v[68:69], -v[78:79]
	v_fma_f64 v[78:79], s[20:21], v[66:67], v[10:11]
	v_fmac_f64_e32 v[70:71], v[90:91], v[76:77]
	v_mul_f64 v[66:67], v[66:67], v[86:87]
	v_mul_f64 v[90:91], v[78:79], v[86:87]
	v_fmac_f64_e32 v[78:79], s[20:21], v[56:57]
	v_mul_f64 v[76:77], v[74:75], v[84:85]
	v_mul_f64 v[66:67], s[20:21], v[66:67]
	;; [unrolled: 1-line block ×5, first 2 shown]
	v_fma_f64 v[88:89], v[88:89], v[66:67], -v[90:91]
	v_fma_f64 v[56:57], v[72:73], v[66:67], -v[56:57]
	v_mul_f64 v[66:67], v[54:55], v[70:71]
	v_mul_f64 v[82:83], v[74:75], v[92:93]
	v_fmac_f64_e32 v[66:67], v[24:25], v[76:77]
	v_fmac_f64_e32 v[66:67], v[82:83], v[0:1]
	v_mul_f64 v[0:1], v[52:53], v[70:71]
	v_fmac_f64_e32 v[0:1], v[26:27], v[76:77]
	v_mul_f64 v[68:69], v[88:89], v[68:69]
	v_mul_f64 v[74:75], v[74:75], v[84:85]
	v_fmac_f64_e32 v[0:1], v[82:83], v[2:3]
	v_mul_f64 v[56:57], v[56:57], v[74:75]
	v_fmac_f64_e32 v[0:1], v[52:53], v[68:69]
	v_fmac_f64_e32 v[0:1], v[52:53], v[56:57]
	v_add_f64 v[62:63], v[62:63], v[0:1]
	v_mul_f64 v[0:1], v[50:51], v[70:71]
	v_fmac_f64_e32 v[0:1], v[96:97], v[76:77]
	v_fmac_f64_e32 v[0:1], v[82:83], v[58:59]
	;; [unrolled: 1-line block ×6, first 2 shown]
	v_add_f64 v[60:61], v[60:61], v[66:67]
	v_add_f64 v[64:65], v[64:65], v[0:1]
	s_branch .LBB0_65
.LBB0_81:
	s_endpgm
	.section	.rodata,"a",@progbits
	.p2align	6, 0x0
	.amdhsa_kernel _Z20calculateForceKernelP6atom_tidPKdS2_idiid
		.amdhsa_group_segment_fixed_size 0
		.amdhsa_private_segment_fixed_size 140
		.amdhsa_kernarg_size 328
		.amdhsa_user_sgpr_count 2
		.amdhsa_user_sgpr_dispatch_ptr 0
		.amdhsa_user_sgpr_queue_ptr 0
		.amdhsa_user_sgpr_kernarg_segment_ptr 1
		.amdhsa_user_sgpr_dispatch_id 0
		.amdhsa_user_sgpr_kernarg_preload_length 0
		.amdhsa_user_sgpr_kernarg_preload_offset 0
		.amdhsa_user_sgpr_private_segment_size 0
		.amdhsa_uses_dynamic_stack 0
		.amdhsa_enable_private_segment 1
		.amdhsa_system_sgpr_workgroup_id_x 1
		.amdhsa_system_sgpr_workgroup_id_y 0
		.amdhsa_system_sgpr_workgroup_id_z 0
		.amdhsa_system_sgpr_workgroup_info 0
		.amdhsa_system_vgpr_workitem_id 0
		.amdhsa_next_free_vgpr 128
		.amdhsa_next_free_sgpr 100
		.amdhsa_accum_offset 128
		.amdhsa_reserve_vcc 1
		.amdhsa_float_round_mode_32 0
		.amdhsa_float_round_mode_16_64 0
		.amdhsa_float_denorm_mode_32 3
		.amdhsa_float_denorm_mode_16_64 3
		.amdhsa_dx10_clamp 1
		.amdhsa_ieee_mode 1
		.amdhsa_fp16_overflow 0
		.amdhsa_tg_split 0
		.amdhsa_exception_fp_ieee_invalid_op 0
		.amdhsa_exception_fp_denorm_src 0
		.amdhsa_exception_fp_ieee_div_zero 0
		.amdhsa_exception_fp_ieee_overflow 0
		.amdhsa_exception_fp_ieee_underflow 0
		.amdhsa_exception_fp_ieee_inexact 0
		.amdhsa_exception_int_div_zero 0
	.end_amdhsa_kernel
	.text
.Lfunc_end0:
	.size	_Z20calculateForceKernelP6atom_tidPKdS2_idiid, .Lfunc_end0-_Z20calculateForceKernelP6atom_tidPKdS2_idiid
                                        ; -- End function
	.set _Z20calculateForceKernelP6atom_tidPKdS2_idiid.num_vgpr, 128
	.set _Z20calculateForceKernelP6atom_tidPKdS2_idiid.num_agpr, 0
	.set _Z20calculateForceKernelP6atom_tidPKdS2_idiid.numbered_sgpr, 100
	.set _Z20calculateForceKernelP6atom_tidPKdS2_idiid.num_named_barrier, 0
	.set _Z20calculateForceKernelP6atom_tidPKdS2_idiid.private_seg_size, 140
	.set _Z20calculateForceKernelP6atom_tidPKdS2_idiid.uses_vcc, 1
	.set _Z20calculateForceKernelP6atom_tidPKdS2_idiid.uses_flat_scratch, 0
	.set _Z20calculateForceKernelP6atom_tidPKdS2_idiid.has_dyn_sized_stack, 0
	.set _Z20calculateForceKernelP6atom_tidPKdS2_idiid.has_recursion, 0
	.set _Z20calculateForceKernelP6atom_tidPKdS2_idiid.has_indirect_call, 0
	.section	.AMDGPU.csdata,"",@progbits
; Kernel info:
; codeLenInByte = 9640
; TotalNumSgprs: 106
; NumVgprs: 128
; NumAgprs: 0
; TotalNumVgprs: 128
; ScratchSize: 140
; MemoryBound: 1
; FloatMode: 240
; IeeeMode: 1
; LDSByteSize: 0 bytes/workgroup (compile time only)
; SGPRBlocks: 13
; VGPRBlocks: 15
; NumSGPRsForWavesPerEU: 106
; NumVGPRsForWavesPerEU: 128
; AccumOffset: 128
; Occupancy: 4
; WaveLimiterHint : 1
; COMPUTE_PGM_RSRC2:SCRATCH_EN: 1
; COMPUTE_PGM_RSRC2:USER_SGPR: 2
; COMPUTE_PGM_RSRC2:TRAP_HANDLER: 0
; COMPUTE_PGM_RSRC2:TGID_X_EN: 1
; COMPUTE_PGM_RSRC2:TGID_Y_EN: 0
; COMPUTE_PGM_RSRC2:TGID_Z_EN: 0
; COMPUTE_PGM_RSRC2:TIDIG_COMP_CNT: 0
; COMPUTE_PGM_RSRC3_GFX90A:ACCUM_OFFSET: 31
; COMPUTE_PGM_RSRC3_GFX90A:TG_SPLIT: 0
	.text
	.p2alignl 6, 3212836864
	.fill 256, 4, 3212836864
	.section	.AMDGPU.gpr_maximums,"",@progbits
	.set amdgpu.max_num_vgpr, 0
	.set amdgpu.max_num_agpr, 0
	.set amdgpu.max_num_sgpr, 0
	.text
	.type	__hip_cuid_d3fe8b1b75ed0926,@object ; @__hip_cuid_d3fe8b1b75ed0926
	.section	.bss,"aw",@nobits
	.globl	__hip_cuid_d3fe8b1b75ed0926
__hip_cuid_d3fe8b1b75ed0926:
	.byte	0                               ; 0x0
	.size	__hip_cuid_d3fe8b1b75ed0926, 1

	.ident	"AMD clang version 22.0.0git (https://github.com/RadeonOpenCompute/llvm-project roc-7.2.4 26084 f58b06dce1f9c15707c5f808fd002e18c2accf7e)"
	.section	".note.GNU-stack","",@progbits
	.addrsig
	.addrsig_sym __hip_cuid_d3fe8b1b75ed0926
	.amdgpu_metadata
---
amdhsa.kernels:
  - .agpr_count:     0
    .args:
      - .address_space:  global
        .offset:         0
        .size:           8
        .value_kind:     global_buffer
      - .offset:         8
        .size:           4
        .value_kind:     by_value
      - .offset:         16
        .size:           8
        .value_kind:     by_value
      - .actual_access:  read_only
        .address_space:  global
        .offset:         24
        .size:           8
        .value_kind:     global_buffer
      - .actual_access:  read_only
        .address_space:  global
        .offset:         32
        .size:           8
        .value_kind:     global_buffer
      - .offset:         40
        .size:           4
        .value_kind:     by_value
      - .offset:         48
        .size:           8
        .value_kind:     by_value
      - .offset:         56
        .size:           4
        .value_kind:     by_value
      - .offset:         60
        .size:           4
        .value_kind:     by_value
      - .offset:         64
        .size:           8
        .value_kind:     by_value
      - .offset:         72
        .size:           4
        .value_kind:     hidden_block_count_x
      - .offset:         76
        .size:           4
        .value_kind:     hidden_block_count_y
      - .offset:         80
        .size:           4
        .value_kind:     hidden_block_count_z
      - .offset:         84
        .size:           2
        .value_kind:     hidden_group_size_x
      - .offset:         86
        .size:           2
        .value_kind:     hidden_group_size_y
      - .offset:         88
        .size:           2
        .value_kind:     hidden_group_size_z
      - .offset:         90
        .size:           2
        .value_kind:     hidden_remainder_x
      - .offset:         92
        .size:           2
        .value_kind:     hidden_remainder_y
      - .offset:         94
        .size:           2
        .value_kind:     hidden_remainder_z
      - .offset:         112
        .size:           8
        .value_kind:     hidden_global_offset_x
      - .offset:         120
        .size:           8
        .value_kind:     hidden_global_offset_y
      - .offset:         128
        .size:           8
        .value_kind:     hidden_global_offset_z
      - .offset:         136
        .size:           2
        .value_kind:     hidden_grid_dims
    .group_segment_fixed_size: 0
    .kernarg_segment_align: 8
    .kernarg_segment_size: 328
    .language:       OpenCL C
    .language_version:
      - 2
      - 0
    .max_flat_workgroup_size: 1024
    .name:           _Z20calculateForceKernelP6atom_tidPKdS2_idiid
    .private_segment_fixed_size: 140
    .sgpr_count:     106
    .sgpr_spill_count: 0
    .symbol:         _Z20calculateForceKernelP6atom_tidPKdS2_idiid.kd
    .uniform_work_group_size: 1
    .uses_dynamic_stack: false
    .vgpr_count:     128
    .vgpr_spill_count: 34
    .wavefront_size: 64
amdhsa.target:   amdgcn-amd-amdhsa--gfx950
amdhsa.version:
  - 1
  - 2
...

	.end_amdgpu_metadata
